;; amdgpu-corpus repo=ROCm/rccl kind=compiled arch=gfx906 opt=O3
	.amdgcn_target "amdgcn-amd-amdhsa--gfx906"
	.amdhsa_code_object_version 6
	.text
	.p2align	2                               ; -- Begin function _ZN12_GLOBAL__N_17runRingIa7FuncSumIaE7ProtoLLLi0ELi1ELi0ELb0EEEviiP15ncclDevWorkColl
	.type	_ZN12_GLOBAL__N_17runRingIa7FuncSumIaE7ProtoLLLi0ELi1ELi0ELb0EEEviiP15ncclDevWorkColl,@function
_ZN12_GLOBAL__N_17runRingIa7FuncSumIaE7ProtoLLLi0ELi1ELi0ELb0EEEviiP15ncclDevWorkColl: ; @_ZN12_GLOBAL__N_17runRingIa7FuncSumIaE7ProtoLLLi0ELi1ELi0ELb0EEEviiP15ncclDevWorkColl
; %bb.0:
	s_waitcnt vmcnt(0) expcnt(0) lgkmcnt(0)
	buffer_store_dword v40, off, s[0:3], s32 offset:60 ; 4-byte Folded Spill
	buffer_store_dword v41, off, s[0:3], s32 offset:56 ; 4-byte Folded Spill
	;; [unrolled: 1-line block ×15, first 2 shown]
	buffer_store_dword v63, off, s[0:3], s32 ; 4-byte Folded Spill
	s_trap 2
	flat_load_dword v7, v[2:3]
	flat_load_dwordx4 v[26:29], v[2:3] offset:72
	flat_load_dwordx2 v[13:14], v[2:3] offset:88
	v_mov_b32_e32 v4, v0
	ds_read_b32 v0, v0
                                        ; implicit-def: $vgpr18_vgpr19
	s_waitcnt lgkmcnt(0)
	ds_read_b64 v[23:24], v0
	v_readfirstlane_b32 s90, v0
	s_waitcnt vmcnt(0)
	v_not_b32_sdwa v6, v7 dst_sel:DWORD dst_unused:UNUSED_PAD src0_sel:BYTE_0
	v_add_u32_sdwa v5, v7, v6 dst_sel:DWORD dst_unused:UNUSED_PAD src0_sel:BYTE_1 src1_sel:DWORD
	v_ashrrev_i32_e32 v8, 31, v5
	v_mul_lo_u32 v9, v29, v5
	v_mad_u64_u32 v[15:16], s[4:5], v28, v5, 0
	v_mul_lo_u32 v5, v28, v8
	v_cmp_ne_u32_sdwa s[4:5], v0, v7 src0_sel:DWORD src1_sel:BYTE_0
	v_add3_u32 v5, v16, v5, v9
                                        ; implicit-def: $vgpr8_vgpr9
                                        ; kill: killed $vgpr8_vgpr9
	s_and_saveexec_b64 s[6:7], s[4:5]
	s_xor_b64 s[4:5], exec, s[6:7]
	s_cbranch_execz .LBB0_6
; %bb.1:
	v_cmp_ne_u32_sdwa s[6:7], v0, v7 src0_sel:DWORD src1_sel:BYTE_1
                                        ; implicit-def: $vgpr18_vgpr19
                                        ; implicit-def: $vgpr7_vgpr8
                                        ; kill: killed $vgpr7_vgpr8
	s_and_saveexec_b64 s[10:11], s[6:7]
	s_xor_b64 s[6:7], exec, s[10:11]
	s_cbranch_execz .LBB0_3
; %bb.2:
	flat_load_dwordx2 v[7:8], v[2:3] offset:96
	v_add_u32_e32 v0, v0, v6
	v_ashrrev_i32_e32 v6, 31, v0
	v_mul_lo_u32 v6, v28, v6
	v_mul_lo_u32 v9, v29, v0
	v_mad_u64_u32 v[10:11], s[10:11], v28, v0, v[26:27]
	v_add3_u32 v11, v9, v11, v6
	buffer_store_dword v10, off, s[0:3], s32 offset:84 ; 4-byte Folded Spill
	s_nop 0
	buffer_store_dword v11, off, s[0:3], s32 offset:88 ; 4-byte Folded Spill
	s_waitcnt vmcnt(0) lgkmcnt(0)
	v_lshrrev_b64 v[18:19], 21, v[7:8]
.LBB0_3:
	s_andn2_saveexec_b64 s[6:7], s[6:7]
	s_cbranch_execz .LBB0_5
; %bb.4:
	flat_load_dword v0, v[2:3] offset:100
	v_add_co_u32_e32 v6, vcc, v15, v26
	v_mov_b32_e32 v29, v14
	v_addc_co_u32_e32 v7, vcc, v5, v27, vcc
	v_mov_b32_e32 v28, v13
	buffer_store_dword v6, off, s[0:3], s32 offset:84 ; 4-byte Folded Spill
	s_nop 0
	buffer_store_dword v7, off, s[0:3], s32 offset:88 ; 4-byte Folded Spill
	s_waitcnt vmcnt(0) lgkmcnt(0)
	v_lshrrev_b32_e32 v18, 10, v0
.LBB0_5:
	s_or_b64 exec, exec, s[6:7]
.LBB0_6:
	s_andn2_saveexec_b64 s[4:5], s[4:5]
	s_cbranch_execz .LBB0_8
; %bb.7:
	flat_load_dwordx2 v[18:19], v[2:3] offset:96
	v_mov_b32_e32 v6, 0
	v_mov_b32_e32 v29, v27
	;; [unrolled: 1-line block ×4, first 2 shown]
	buffer_store_dword v6, off, s[0:3], s32 offset:84 ; 4-byte Folded Spill
	s_nop 0
	buffer_store_dword v7, off, s[0:3], s32 offset:88 ; 4-byte Folded Spill
.LBB0_8:
	s_or_b64 exec, exec, s[4:5]
	flat_load_dwordx4 v[40:43], v[2:3] offset:16
	v_add_co_u32_e32 v0, vcc, v13, v26
	v_addc_co_u32_e32 v6, vcc, v14, v27, vcc
	v_add_co_u32_e32 v0, vcc, v0, v15
	v_addc_co_u32_e32 v27, vcc, v6, v5, vcc
	v_cmp_ge_i32_e32 vcc, v4, v1
	s_and_saveexec_b64 s[4:5], vcc
	s_xor_b64 s[6:7], exec, s[4:5]
	s_cbranch_execz .LBB0_33
; %bb.9:
	s_waitcnt lgkmcnt(0)
	flat_load_dword v2, v[23:24]
	s_waitcnt vmcnt(0) lgkmcnt(0)
	v_ashrrev_i32_e32 v5, 31, v2
	v_mul_lo_u32 v6, v27, v2
	v_mad_u64_u32 v[2:3], s[4:5], v0, v2, 0
	v_mul_lo_u32 v0, v0, v5
	v_add_co_u32_e32 v5, vcc, v40, v2
	v_add3_u32 v3, v3, v0, v6
	v_addc_co_u32_e32 v6, vcc, v41, v3, vcc
	v_cmp_ne_u64_e32 vcc, v[42:43], v[5:6]
	s_and_saveexec_b64 s[10:11], vcc
	s_cbranch_execz .LBB0_32
; %bb.10:
	buffer_load_dword v5, off, s[0:3], s32 offset:84 ; 4-byte Folded Reload
	buffer_load_dword v6, off, s[0:3], s32 offset:88 ; 4-byte Folded Reload
	v_sub_u32_e32 v12, v4, v1
	s_mov_b64 s[14:15], 0
	s_mov_b64 s[16:17], 0
	s_waitcnt vmcnt(1)
	v_add_co_u32_e32 v13, vcc, v42, v5
	s_waitcnt vmcnt(0)
	v_addc_co_u32_e32 v14, vcc, v43, v6, vcc
	v_add_co_u32_e32 v0, vcc, v40, v5
	v_addc_co_u32_e32 v5, vcc, v41, v6, vcc
	v_add_co_u32_e32 v15, vcc, v0, v2
	v_ashrrev_i16_e32 v0, 15, v12
	v_lshrrev_b16_e32 v0, 10, v0
	v_add_u16_e32 v1, v12, v0
	v_and_b32_e32 v0, 0xffffffc0, v1
	v_addc_co_u32_e32 v16, vcc, v5, v3, vcc
	v_sub_u16_e32 v0, v12, v0
	v_cmp_gt_i16_e32 vcc, 1, v0
	s_and_saveexec_b64 s[4:5], vcc
; %bb.11:
	v_or_b32_e32 v2, v13, v15
	v_and_b32_e32 v2, 15, v2
	v_cmp_ne_u32_e32 vcc, 0, v2
	s_and_b64 s[16:17], vcc, exec
; %bb.12:
	s_or_b64 exec, exec, s[4:5]
	v_ashrrev_i16_e32 v17, 6, v1
	v_cndmask_b32_e64 v1, 0, 1, s[16:17]
	v_cmp_ne_u32_e32 vcc, 0, v1
	s_cbranch_vccz .LBB0_14
; %bb.13:
	v_mov_b32_e32 v2, 0
	s_mov_b64 s[18:19], -1
	v_mov_b32_e32 v3, 0
	s_mov_b64 s[4:5], 0
                                        ; implicit-def: $vgpr4_vgpr5
                                        ; implicit-def: $vgpr0_vgpr1
                                        ; implicit-def: $vgpr18
	s_and_saveexec_b64 s[16:17], s[18:19]
	s_cbranch_execnz .LBB0_23
	s_branch .LBB0_26
.LBB0_14:
	v_bfe_i32 v18, v0, 0, 16
	v_ashrrev_i32_e32 v0, 31, v29
	v_lshrrev_b32_e32 v0, 21, v0
	v_add_co_u32_e32 v0, vcc, v28, v0
	v_addc_co_u32_e32 v1, vcc, 0, v29, vcc
	v_ashrrev_i64 v[9:10], 11, v[0:1]
	v_bfe_i32 v0, v17, 0, 16
	v_ashrrev_i32_e32 v1, 31, v0
	v_sub_co_u32_e32 v11, vcc, v9, v0
	v_subb_co_u32_e32 v12, vcc, v10, v1, vcc
	v_cmp_gt_i64_e32 vcc, 1, v[11:12]
	v_mov_b32_e32 v2, 0
	s_mov_b64 s[18:19], 0
	s_mov_b64 s[4:5], -1
	v_mov_b32_e32 v3, 0
                                        ; implicit-def: $vgpr4_vgpr5
                                        ; implicit-def: $vgpr0_vgpr1
                                        ; implicit-def: $vgpr12
	s_and_saveexec_b64 s[16:17], vcc
	s_cbranch_execz .LBB0_22
; %bb.15:
	v_lshlrev_b64 v[0:1], 11, v[9:10]
	v_mov_b32_e32 v2, 0
	v_cmp_ne_u64_e32 vcc, v[28:29], v[0:1]
	v_mov_b32_e32 v3, 0
	s_mov_b64 s[20:21], 0
                                        ; implicit-def: $vgpr4_vgpr5
                                        ; implicit-def: $vgpr9_vgpr10
                                        ; implicit-def: $vgpr12
	s_and_saveexec_b64 s[14:15], vcc
	s_cbranch_execz .LBB0_21
; %bb.16:
	v_sub_co_u32_e32 v6, vcc, v28, v0
	v_subb_co_u32_e32 v7, vcc, v29, v1, vcc
	v_ashrrev_i32_e32 v2, 31, v7
	v_lshrrev_b32_e32 v2, 22, v2
	v_add_co_u32_e32 v2, vcc, v6, v2
	v_addc_co_u32_e32 v3, vcc, 0, v7, vcc
	v_ashrrev_i64 v[8:9], 10, v[2:3]
	v_and_b32_e32 v2, 0xfffffc00, v2
	v_sub_co_u32_e32 v9, vcc, v6, v2
	v_subb_co_u32_e32 v10, vcc, v7, v3, vcc
	v_cmp_lt_i64_e32 vcc, 15, v[9:10]
	v_add_co_u32_e64 v2, s[4:5], v2, v0
	v_mov_b32_e32 v5, 0
	v_addc_co_u32_e64 v3, s[4:5], v3, v1, s[4:5]
	s_and_saveexec_b64 s[4:5], vcc
; %bb.17:
	v_add_co_u32_e32 v8, vcc, 1, v8
	v_and_b32_e32 v4, 15, v28
	v_sub_co_u32_e32 v9, vcc, v9, v4
	v_subbrev_co_u32_e32 v10, vcc, 0, v10, vcc
	v_add_co_u32_e32 v2, vcc, v9, v2
	v_addc_co_u32_e32 v3, vcc, v10, v3, vcc
	v_mov_b32_e32 v10, v5
	v_mov_b32_e32 v9, v4
; %bb.18:
	s_or_b64 exec, exec, s[4:5]
	v_lshlrev_b32_e32 v4, 6, v11
	v_sub_u32_e32 v4, v18, v4
	v_ashrrev_i32_e32 v5, 31, v4
	v_lshrrev_b32_e32 v5, 26, v5
	v_add_u32_e32 v5, v4, v5
	v_ashrrev_i32_e32 v11, 6, v5
	v_and_b32_e32 v5, 0xffffffc0, v5
	v_sub_u32_e32 v19, v4, v5
	v_lshlrev_b32_e32 v4, 4, v19
	v_lshl_add_u32 v4, v11, 10, v4
	v_ashrrev_i32_e32 v5, 31, v4
	v_sub_co_u32_e32 v6, vcc, v6, v4
	v_subb_co_u32_e32 v7, vcc, v7, v5, vcc
	v_cmp_gt_i64_e32 vcc, 16, v[6:7]
	s_mov_b64 s[4:5], 0
	s_mov_b64 s[18:19], -1
                                        ; implicit-def: $vgpr12
	s_and_saveexec_b64 s[20:21], vcc
; %bb.19:
	v_cmp_ne_u64_e32 vcc, 0, v[9:10]
	v_sub_u32_e32 v6, v11, v8
	v_lshl_add_u32 v12, v6, 6, v19
	s_xor_b64 s[18:19], exec, -1
	s_and_b64 s[4:5], vcc, exec
; %bb.20:
	s_or_b64 exec, exec, s[20:21]
	s_and_b64 s[20:21], s[18:19], exec
	s_and_b64 s[18:19], s[4:5], exec
.LBB0_21:
	s_or_b64 exec, exec, s[14:15]
	v_mov_b32_e32 v29, v10
	s_xor_b64 s[4:5], exec, -1
	s_and_b64 s[14:15], s[20:21], exec
	s_and_b64 s[18:19], s[18:19], exec
	v_mov_b32_e32 v28, v9
.LBB0_22:
	s_or_b64 exec, exec, s[16:17]
	s_and_saveexec_b64 s[16:17], s[18:19]
	s_cbranch_execz .LBB0_26
.LBB0_23:
	v_ashrrev_i32_e32 v7, 31, v29
	v_ashrrev_i32_e32 v6, 31, v12
	v_lshrrev_b32_e32 v7, 23, v7
	v_lshrrev_b32_e32 v6, 26, v6
	v_add_co_u32_e32 v7, vcc, v28, v7
	v_add_u32_e32 v6, v12, v6
	v_addc_co_u32_e32 v8, vcc, 0, v29, vcc
	v_ashrrev_i32_e32 v6, 6, v6
	v_ashrrev_i64 v[8:9], 9, v[7:8]
	v_ashrrev_i32_e32 v7, 31, v6
	v_cmp_gt_i64_e32 vcc, v[8:9], v[6:7]
	s_and_b64 exec, exec, vcc
	s_cbranch_execz .LBB0_26
; %bb.24:
	v_lshlrev_b32_e32 v7, 6, v6
	v_sub_u32_e32 v7, v12, v7
	v_lshl_add_u32 v6, v6, 9, v7
	v_ashrrev_i32_e32 v7, 31, v6
	v_add_co_u32_e32 v6, vcc, v2, v6
	v_addc_co_u32_e32 v7, vcc, v3, v7, vcc
	v_add_co_u32_e32 v2, vcc, v6, v15
	v_addc_co_u32_e32 v3, vcc, v7, v16, vcc
	;; [unrolled: 2-line block ×3, first 2 shown]
	s_and_b64 vcc, exec, -1
.LBB0_25:                               ; =>This Inner Loop Header: Depth=1
	flat_load_ubyte v8, v[6:7] glc slc
	flat_load_ubyte v9, v[6:7] offset:64 glc slc
	flat_load_ubyte v10, v[6:7] offset:128 glc slc
	;; [unrolled: 1-line block ×7, first 2 shown]
	s_waitcnt vmcnt(0) lgkmcnt(0)
	flat_store_byte v[2:3], v8 glc slc
	flat_store_byte v[2:3], v9 offset:64 glc slc
	flat_store_byte v[2:3], v10 offset:128 glc slc
	;; [unrolled: 1-line block ×7, first 2 shown]
	s_mov_b64 vcc, vcc
	s_cbranch_vccnz .LBB0_25
.LBB0_26:
	s_or_b64 exec, exec, s[16:17]
	s_and_saveexec_b64 s[16:17], s[14:15]
	s_cbranch_execz .LBB0_29
; %bb.27:
	v_add_co_u32_e32 v2, vcc, v0, v4
	v_addc_co_u32_e32 v3, vcc, v1, v5, vcc
	v_add_co_u32_e32 v0, vcc, v2, v15
	v_addc_co_u32_e32 v1, vcc, v3, v16, vcc
	;; [unrolled: 2-line block ×3, first 2 shown]
	s_and_b64 vcc, exec, 0
.LBB0_28:                               ; =>This Inner Loop Header: Depth=1
	global_load_dwordx4 v[4:7], v[2:3], off glc slc
	s_waitcnt vmcnt(0)
	global_store_dwordx4 v[0:1], v[4:7], off glc slc
	s_mov_b64 vcc, vcc
	s_cbranch_vccz .LBB0_28
.LBB0_29:
	s_or_b64 exec, exec, s[16:17]
	s_and_saveexec_b64 s[14:15], s[4:5]
	s_xor_b64 s[14:15], exec, s[14:15]
	s_cbranch_execz .LBB0_32
; %bb.30:
	v_bfe_i32 v0, v17, 0, 16
	v_lshlrev_b32_e32 v1, 4, v18
	v_lshl_add_u32 v2, v0, 11, v1
	v_ashrrev_i32_e32 v3, 31, v2
	v_add_co_u32_e32 v0, vcc, v15, v2
	v_addc_co_u32_e32 v1, vcc, v16, v3, vcc
	v_add_co_u32_e32 v2, vcc, v13, v2
	v_addc_co_u32_e32 v3, vcc, v14, v3, vcc
	s_and_b64 vcc, exec, 0
.LBB0_31:                               ; =>This Inner Loop Header: Depth=1
	global_load_dwordx4 v[4:7], v[2:3], off glc slc
	global_load_dwordx4 v[8:11], v[2:3], off offset:1024 glc slc
	s_waitcnt vmcnt(0)
	global_store_dwordx4 v[0:1], v[4:7], off glc slc
	global_store_dwordx4 v[0:1], v[8:11], off offset:1024 glc slc
	s_mov_b64 vcc, vcc
	s_cbranch_vccz .LBB0_31
.LBB0_32:
	s_or_b64 exec, exec, s[10:11]
                                        ; implicit-def: $vgpr0_vgpr1
                                        ; implicit-def: $vgpr28_vgpr29
                                        ; kill: killed $vgpr0_vgpr1
                                        ; implicit-def: $vgpr18_vgpr19
                                        ; implicit-def: $vgpr4
                                        ; implicit-def: $vgpr23_vgpr24
                                        ; implicit-def: $vgpr40_vgpr41_vgpr42_vgpr43
                                        ; implicit-def: $vgpr31
                                        ; implicit-def: $vgpr2_vgpr3
                                        ; implicit-def: $vgpr27
                                        ; implicit-def: $vgpr1
                                        ; implicit-def: $vgpr0
.LBB0_33:
	s_andn2_saveexec_b64 s[20:21], s[6:7]
	s_cbranch_execz .LBB0_340
; %bb.34:
	flat_load_ushort v7, v[2:3] offset:8
	flat_load_dword v6, v[2:3] offset:4
	s_load_dword s4, s[8:9], 0x0
	v_mov_b32_e32 v20, 0
	v_ashrrev_i32_e32 v5, 31, v4
	v_mov_b32_e32 v10, 0
	s_mov_b32 s6, 0
	s_waitcnt lgkmcnt(0)
	s_cmp_lt_u32 s12, s4
	s_cselect_b32 s4, 12, 18
	s_add_u32 s4, s8, s4
	s_addc_u32 s5, s9, 0
	global_load_ushort v2, v20, s[4:5]
	v_mov_b32_e32 v11, 0
	s_waitcnt vmcnt(0)
	buffer_store_dword v2, off, s[0:3], s32 offset:160 ; 4-byte Folded Spill
	s_trap 2
	ds_read_b32 v19, v0
	v_lshrrev_b32_e32 v2, 26, v5
	v_add_u32_e32 v8, v4, v2
	v_lshrrev_b64 v[2:3], 31, v[6:7]
	v_and_b32_e32 v7, 3, v2
	v_and_b32_e32 v2, 0xffffffc0, v8
	v_sub_u32_e32 v6, v4, v2
	s_waitcnt lgkmcnt(0)
	v_cmp_gt_i32_e32 vcc, 0, v19
	v_cmp_eq_u32_e64 s[4:5], 0, v6
	s_cbranch_vccnz .LBB0_36
; %bb.35:
	s_trap 2
	ds_read_b64 v[2:3], v0
	v_lshlrev_b64 v[8:9], 3, v[19:20]
	s_movk_i32 s6, 0xa8
	s_waitcnt lgkmcnt(0)
	v_add_co_u32_e32 v2, vcc, v2, v8
	v_addc_co_u32_e32 v3, vcc, v3, v9, vcc
	flat_load_dwordx2 v[2:3], v[2:3]
	v_and_b32_e32 v8, 0xffff, v7
	s_waitcnt vmcnt(0) lgkmcnt(0)
	v_mad_u64_u32 v[2:3], s[6:7], v8, s6, v[2:3]
	flat_load_dwordx2 v[32:33], v[2:3] offset:504
	flat_load_dwordx2 v[34:35], v[2:3] offset:608
	v_add_co_u32_e32 v20, vcc, 0x1f8, v2
	v_addc_co_u32_e32 v21, vcc, 0, v3, vcc
	v_cndmask_b32_e64 v3, 0, v21, s[4:5]
	v_cndmask_b32_e64 v2, 0, v20, s[4:5]
	s_mov_b32 s6, 1
	s_branch .LBB0_37
.LBB0_36:
	v_mov_b32_e32 v20, 0
	v_mov_b32_e32 v2, 0
	;; [unrolled: 1-line block ×4, first 2 shown]
                                        ; implicit-def: $vgpr34_vgpr35
                                        ; implicit-def: $vgpr32_vgpr33
.LBB0_37:
	s_trap 2
	ds_read_b32 v13, v0
	s_waitcnt lgkmcnt(0)
	v_cmp_gt_i32_e32 vcc, 0, v13
	s_cbranch_vccnz .LBB0_39
; %bb.38:
	s_trap 2
	ds_read_b64 v[8:9], v0
	v_mov_b32_e32 v14, 0
	v_lshlrev_b64 v[10:11], 3, v[13:14]
	v_and_b32_e32 v7, 0xffff, v7
	s_movk_i32 s4, 0xa8
	s_waitcnt lgkmcnt(0)
	v_add_co_u32_e32 v8, vcc, v8, v10
	v_addc_co_u32_e32 v9, vcc, v9, v11, vcc
	flat_load_dwordx2 v[8:9], v[8:9]
	v_cmp_eq_u32_e32 vcc, 0, v6
	s_waitcnt vmcnt(0) lgkmcnt(0)
	v_mad_u64_u32 v[10:11], s[4:5], v7, s4, v[8:9]
	flat_load_dwordx2 v[36:37], v[10:11]
	flat_load_dwordx2 v[46:47], v[10:11] offset:104
	v_cndmask_b32_e32 v16, 0, v11, vcc
	v_cndmask_b32_e32 v15, 0, v10, vcc
	s_branch .LBB0_40
.LBB0_39:
	v_mov_b32_e32 v15, 0
	v_mov_b32_e32 v16, 0
                                        ; implicit-def: $vgpr46_vgpr47
                                        ; implicit-def: $vgpr36_vgpr37
.LBB0_40:
	v_subrev_u32_e32 v7, 64, v1
	v_cmp_ge_i32_e32 vcc, v4, v7
	v_cmp_gt_i32_e64 s[4:5], s6, v6
	v_mov_b32_e32 v13, 0
	v_mov_b32_e32 v48, 0
	v_mov_b32_e32 v14, 0
	v_mov_b32_e32 v49, 0
	s_and_b64 s[22:23], vcc, s[4:5]
                                        ; implicit-def: $vgpr38_vgpr39
	s_and_saveexec_b64 s[4:5], s[22:23]
	s_cbranch_execz .LBB0_42
; %bb.41:
	flat_load_dwordx2 v[48:49], v[2:3] offset:56
	flat_load_dwordx2 v[38:39], v[2:3] offset:104
.LBB0_42:
	s_or_b64 exec, exec, s[4:5]
	v_mov_b32_e32 v50, 0
	v_mov_b32_e32 v51, 0
	v_cmp_gt_i32_e64 s[4:5], s6, v4
                                        ; implicit-def: $vgpr52_vgpr53
	s_and_saveexec_b64 s[6:7], s[4:5]
	s_cbranch_execz .LBB0_44
; %bb.43:
	flat_load_dwordx2 v[50:51], v[15:16] offset:56
	s_waitcnt vmcnt(0) lgkmcnt(0)
	flat_load_dwordx2 v[52:53], v[50:51] glc
	s_waitcnt vmcnt(0)
	flat_load_dwordx4 v[13:16], v[15:16] offset:96
.LBB0_44:
	s_or_b64 exec, exec, s[6:7]
	v_mov_b32_e32 v2, 0
	v_cmp_ne_u64_e32 vcc, 0, v[28:29]
	v_mov_b32_e32 v3, 0
	s_and_saveexec_b64 s[24:25], vcc
	s_cbranch_execnz .LBB0_48
; %bb.45:
	s_or_b64 exec, exec, s[24:25]
	s_and_saveexec_b64 s[6:7], s[22:23]
	s_cbranch_execnz .LBB0_320
.LBB0_46:
	s_or_b64 exec, exec, s[6:7]
	s_and_saveexec_b64 s[6:7], s[4:5]
	s_cbranch_execnz .LBB0_321
.LBB0_47:
	s_or_b64 exec, exec, s[6:7]
	v_cmp_ne_u32_e32 vcc, 64, v1
	s_and_saveexec_b64 s[4:5], vcc
	s_cbranch_execnz .LBB0_322
	s_branch .LBB0_339
.LBB0_48:
	v_cvt_f64_u32_e32 v[2:3], 0
	v_lshlrev_b32_e32 v6, 4, v18
	v_and_b32_e32 v6, 0x1fffff0, v6
	buffer_store_dword v20, off, s[0:3], s32 offset:176 ; 4-byte Folded Spill
	s_nop 0
	buffer_store_dword v21, off, s[0:3], s32 offset:180 ; 4-byte Folded Spill
	buffer_store_dword v10, off, s[0:3], s32 offset:168 ; 4-byte Folded Spill
	s_nop 0
	buffer_store_dword v11, off, s[0:3], s32 offset:172 ; 4-byte Folded Spill
	v_ldexp_f64 v[2:3], v[2:3], 32
	buffer_store_dword v6, off, s[0:3], s32 offset:124 ; 4-byte Folded Spill
	v_cvt_f64_u32_e32 v[6:7], v6
	v_ashrrev_i32_e32 v8, 31, v19
	v_lshrrev_b32_e32 v8, 29, v8
	v_add_u32_e32 v8, v19, v8
	v_ashrrev_i32_e32 v54, 7, v8
	v_and_b32_e32 v9, 0x1fffff, v18
	v_add_f64 v[2:3], v[2:3], v[6:7]
	v_lshlrev_b32_e32 v6, 3, v4
	v_ashrrev_i32_e32 v8, 31, v6
	v_mov_b32_e32 v17, 0
	v_cmp_ne_u64_e64 s[6:7], 0, v[50:51]
	s_waitcnt vmcnt(0) lgkmcnt(0)
	v_cmp_ne_u64_e64 s[8:9], 0, v[13:14]
	s_cmp_lt_i32 s90, 3
	v_cmp_ne_u64_e64 s[14:15], 0, v[48:49]
	buffer_store_dword v2, off, s[0:3], s32 offset:128 ; 4-byte Folded Spill
	s_nop 0
	buffer_store_dword v3, off, s[0:3], s32 offset:132 ; 4-byte Folded Spill
	buffer_load_dword v2, off, s[0:3], s32 offset:160 ; 4-byte Folded Reload
	s_mov_b64 s[26:27], 0
	buffer_store_dword v31, off, s[0:3], s32 offset:164 ; 4-byte Folded Spill
	v_cmp_ne_u32_e64 s[10:11], 64, v1
	s_cselect_b64 s[40:41], -1, 0
	s_add_i32 s91, s90, -2
	s_mov_b64 s[42:43], 0x7ffffff8
	s_waitcnt vmcnt(1)
	v_cmp_ne_u32_sdwa s[28:29], v1, v2 src0_sel:DWORD src1_sel:WORD_0
	v_and_b32_e32 v2, 63, v31
	v_cmp_eq_u32_e64 s[12:13], 0, v2
	v_lshrrev_b32_e32 v2, 6, v1
	buffer_store_dword v2, off, s[0:3], s32 offset:68 ; 4-byte Folded Spill
	v_add_co_u32_e32 v2, vcc, v40, v6
	buffer_store_dword v2, off, s[0:3], s32 offset:144 ; 4-byte Folded Spill
	v_addc_co_u32_e32 v2, vcc, v41, v8, vcc
	buffer_store_dword v2, off, s[0:3], s32 offset:148 ; 4-byte Folded Spill
	buffer_load_dword v2, off, s[0:3], s32 offset:84 ; 4-byte Folded Reload
	s_nop 0
	buffer_load_dword v3, off, s[0:3], s32 offset:88 ; 4-byte Folded Reload
	v_lshlrev_b32_e32 v31, 3, v1
	buffer_store_dword v8, off, s[0:3], s32 offset:140 ; 4-byte Folded Spill
	s_waitcnt vmcnt(2)
	v_add_co_u32_e32 v7, vcc, v2, v6
	s_waitcnt vmcnt(1)
	v_addc_co_u32_e32 v8, vcc, v3, v8, vcc
	v_lshlrev_b64 v[2:3], 4, v[4:5]
	v_add_co_u32_e32 v2, vcc, v36, v2
	buffer_store_dword v2, off, s[0:3], s32 offset:152 ; 4-byte Folded Spill
	v_addc_co_u32_e32 v2, vcc, v37, v3, vcc
	v_add_co_u32_e32 v5, vcc, v7, v42
	buffer_store_dword v2, off, s[0:3], s32 offset:156 ; 4-byte Folded Spill
	v_addc_co_u32_e32 v6, vcc, v8, v43, vcc
	v_lshlrev_b32_e32 v2, 7, v9
	buffer_store_dword v2, off, s[0:3], s32 offset:136 ; 4-byte Folded Spill
	v_add_co_u32_e32 v2, vcc, v40, v7
	buffer_store_dword v2, off, s[0:3], s32 offset:76 ; 4-byte Folded Spill
	buffer_store_dword v40, off, s[0:3], s32 offset:108 ; 4-byte Folded Spill
	s_nop 0
	buffer_store_dword v41, off, s[0:3], s32 offset:112 ; 4-byte Folded Spill
	buffer_store_dword v42, off, s[0:3], s32 offset:116 ; 4-byte Folded Spill
	;; [unrolled: 1-line block ×3, first 2 shown]
	v_lshlrev_b32_e32 v3, 3, v5
	buffer_store_dword v3, off, s[0:3], s32 offset:72 ; 4-byte Folded Spill
	v_mov_b32_e32 v42, 0
	v_mov_b32_e32 v9, v28
	v_mov_b32_e32 v43, 0
	v_mov_b32_e32 v10, v29
	v_addc_co_u32_e32 v2, vcc, v41, v8, vcc
	buffer_store_dword v2, off, s[0:3], s32 offset:80 ; 4-byte Folded Spill
	v_mov_b32_e32 v2, v17
	v_lshlrev_b64 v[40:41], 4, v[1:2]
	v_mov_b32_e32 v2, 0
	v_mov_b32_e32 v3, 0
	;; [unrolled: 1-line block ×3, first 2 shown]
	buffer_store_dword v7, off, s[0:3], s32 offset:92 ; 4-byte Folded Spill
	s_nop 0
	buffer_store_dword v8, off, s[0:3], s32 offset:96 ; 4-byte Folded Spill
	buffer_store_dword v9, off, s[0:3], s32 offset:100 ; 4-byte Folded Spill
	;; [unrolled: 1-line block ×3, first 2 shown]
	s_branch .LBB0_50
.LBB0_49:                               ;   in Loop: Header=BB0_50 Depth=1
	s_or_b64 exec, exec, s[16:17]
	buffer_load_dword v7, off, s[0:3], s32 offset:124 ; 4-byte Folded Reload
	buffer_load_dword v9, off, s[0:3], s32 offset:136 ; 4-byte Folded Reload
	;; [unrolled: 1-line block ×3, first 2 shown]
	v_add_co_u32_e32 v34, vcc, 1, v34
	v_addc_co_u32_e32 v35, vcc, 0, v35, vcc
	s_waitcnt vmcnt(0)
	v_add_co_u32_e32 v42, vcc, v42, v7
	v_add_u32_e32 v10, v10, v9
	buffer_load_dword v9, off, s[0:3], s32 offset:76 ; 4-byte Folded Reload
	v_addc_co_u32_e32 v43, vcc, 0, v43, vcc
	v_add_co_u32_e32 v5, vcc, v5, v7
	v_addc_co_u32_e32 v6, vcc, 0, v6, vcc
	v_cmp_ge_u64_e32 vcc, v[42:43], v[28:29]
	buffer_store_dword v10, off, s[0:3], s32 offset:72 ; 4-byte Folded Spill
	s_or_b64 s[26:27], vcc, s[26:27]
	s_waitcnt vmcnt(0)
	v_add_co_u32_e32 v9, vcc, v9, v7
	buffer_load_dword v7, off, s[0:3], s32 offset:80 ; 4-byte Folded Reload
	s_waitcnt vmcnt(0)
	v_addc_co_u32_e32 v7, vcc, 0, v7, vcc
	buffer_store_dword v9, off, s[0:3], s32 offset:76 ; 4-byte Folded Spill
	buffer_store_dword v7, off, s[0:3], s32 offset:80 ; 4-byte Folded Spill
	s_andn2_b64 exec, exec, s[26:27]
	s_cbranch_execz .LBB0_319
.LBB0_50:                               ; =>This Loop Header: Depth=1
                                        ;     Child Loop BB0_56 Depth 2
                                        ;     Child Loop BB0_75 Depth 2
	;; [unrolled: 1-line block ×9, first 2 shown]
                                        ;       Child Loop BB0_173 Depth 3
                                        ;       Child Loop BB0_192 Depth 3
	;; [unrolled: 1-line block ×3, first 2 shown]
                                        ;         Child Loop BB0_218 Depth 4
                                        ;       Child Loop BB0_252 Depth 3
                                        ;       Child Loop BB0_209 Depth 3
                                        ;     Child Loop BB0_267 Depth 2
                                        ;       Child Loop BB0_271 Depth 3
                                        ;     Child Loop BB0_307 Depth 2
	v_sub_co_u32_e32 v7, vcc, v28, v42
	v_subb_co_u32_e32 v9, vcc, v29, v43, vcc
	v_cvt_f64_u32_e32 v[9:10], v9
	v_cvt_f64_u32_e32 v[11:12], v7
	v_ldexp_f64 v[9:10], v[9:10], 32
	v_add_f64 v[9:10], v[9:10], v[11:12]
	buffer_load_dword v11, off, s[0:3], s32 offset:128 ; 4-byte Folded Reload
	buffer_load_dword v12, off, s[0:3], s32 offset:132 ; 4-byte Folded Reload
	s_waitcnt vmcnt(0)
	v_max_f64 v[11:12], v[11:12], v[11:12]
	v_min_f64 v[9:10], v[11:12], v[9:10]
	v_cvt_i32_f64_e32 v7, v[9:10]
	buffer_load_dword v10, off, s[0:3], s32 offset:84 ; 4-byte Folded Reload
	buffer_load_dword v11, off, s[0:3], s32 offset:88 ; 4-byte Folded Reload
	flat_load_dword v9, v[23:24]
	buffer_load_dword v55, off, s[0:3], s32 offset:108 ; 4-byte Folded Reload
	buffer_load_dword v56, off, s[0:3], s32 offset:112 ; 4-byte Folded Reload
	;; [unrolled: 1-line block ×4, first 2 shown]
	v_max_i32_e32 v63, 0, v7
	v_add_u32_e32 v7, 7, v63
	s_waitcnt vmcnt(0)
	v_add_co_u32_e32 v10, vcc, v42, v10
	s_waitcnt lgkmcnt(0)
	v_ashrrev_i32_e32 v12, 31, v9
	v_mul_lo_u32 v18, v27, v9
	v_mul_lo_u32 v12, v0, v12
	v_mad_u64_u32 v[20:21], s[16:17], v0, v9, 0
	v_addc_co_u32_e32 v11, vcc, v43, v11, vcc
	v_add3_u32 v21, v21, v12, v18
	v_add_co_u32_e32 v18, vcc, v57, v10
	v_addc_co_u32_e32 v19, vcc, v58, v11, vcc
	v_add_co_u32_e32 v44, vcc, v55, v10
	v_addc_co_u32_e32 v45, vcc, v56, v11, vcc
	v_add_co_u32_e32 v25, vcc, v44, v20
	v_ashrrev_i32_e32 v9, 31, v7
	v_addc_co_u32_e32 v26, vcc, v45, v21, vcc
	v_lshrrev_b32_e32 v9, 29, v9
	v_cmp_ne_u64_e32 vcc, v[18:19], v[25:26]
	v_add_u32_e32 v7, v7, v9
	v_ashrrev_i32_e32 v7, 3, v7
	buffer_store_dword v7, off, s[0:3], s32 offset:64 ; 4-byte Folded Spill
	s_and_saveexec_b64 s[16:17], vcc
	s_xor_b64 s[18:19], exec, s[16:17]
	s_cbranch_execz .LBB0_116
; %bb.51:                               ;   in Loop: Header=BB0_50 Depth=1
	s_and_saveexec_b64 s[44:45], s[6:7]
	s_cbranch_execz .LBB0_67
; %bb.52:                               ;   in Loop: Header=BB0_50 Depth=1
	v_add_co_u32_e32 v18, vcc, 1, v15
	v_addc_co_u32_e32 v19, vcc, 0, v16, vcc
	v_add_co_u32_e32 v25, vcc, 8, v52
	v_addc_co_u32_e32 v26, vcc, 0, v53, vcc
	v_cmp_lt_u64_e32 vcc, v[25:26], v[18:19]
	s_and_saveexec_b64 s[46:47], vcc
	s_cbranch_execz .LBB0_64
; %bb.53:                               ;   in Loop: Header=BB0_50 Depth=1
	s_mov_b32 s92, 0
	v_cmp_eq_u32_e32 vcc, 0, v8
	s_mov_b64 s[56:57], 0
                                        ; implicit-def: $sgpr58_sgpr59
                                        ; implicit-def: $sgpr60_sgpr61
                                        ; implicit-def: $sgpr62_sgpr63
	s_branch .LBB0_56
.LBB0_54:                               ;   in Loop: Header=BB0_56 Depth=2
	s_or_b64 exec, exec, s[88:89]
	s_andn2_b64 s[16:17], s[62:63], exec
	s_and_b64 s[62:63], s[76:77], exec
	s_or_b64 s[62:63], s[16:17], s[62:63]
	s_andn2_b64 s[16:17], s[60:61], exec
	s_and_b64 s[60:61], s[74:75], exec
	v_mov_b32_e32 v12, 0
	s_or_b64 s[60:61], s[16:17], s[60:61]
.LBB0_55:                               ;   in Loop: Header=BB0_56 Depth=2
	s_or_b64 exec, exec, s[72:73]
	s_and_b64 s[16:17], exec, s[60:61]
	s_or_b64 s[56:57], s[16:17], s[56:57]
	s_andn2_b64 s[16:17], s[58:59], exec
	s_and_b64 s[58:59], s[62:63], exec
	s_or_b64 s[58:59], s[16:17], s[58:59]
	s_andn2_b64 exec, exec, s[56:57]
	s_cbranch_execz .LBB0_61
.LBB0_56:                               ;   Parent Loop BB0_50 Depth=1
                                        ; =>  This Inner Loop Header: Depth=2
	s_sleep 1
	s_waitcnt vmcnt(0) lgkmcnt(0)
	flat_load_dwordx2 v[52:53], v[50:51] glc
	s_or_b64 s[62:63], s[62:63], exec
	s_or_b64 s[60:61], s[60:61], exec
	v_mov_b32_e32 v12, v8
                                        ; implicit-def: $vgpr7
	s_and_saveexec_b64 s[72:73], vcc
	s_cbranch_execz .LBB0_55
; %bb.57:                               ;   in Loop: Header=BB0_56 Depth=2
	s_add_i32 s92, s92, 1
	s_cmpk_lg_i32 s92, 0x2710
	s_cselect_b64 s[78:79], -1, 0
	s_cmpk_eq_i32 s92, 0x2710
	s_mov_b64 s[74:75], -1
	s_mov_b64 s[76:77], -1
                                        ; implicit-def: $vgpr7
	s_cbranch_scc1 .LBB0_59
; %bb.58:                               ;   in Loop: Header=BB0_56 Depth=2
	s_and_saveexec_b64 s[88:89], s[78:79]
	s_cbranch_execz .LBB0_54
	s_branch .LBB0_60
.LBB0_59:                               ;   in Loop: Header=BB0_56 Depth=2
	s_trap 2
	ds_read_b64 v[25:26], v0
	s_andn2_b64 s[78:79], s[78:79], exec
	s_mov_b32 s92, 0
	s_mov_b64 s[76:77], 0
	s_waitcnt vmcnt(0) lgkmcnt(0)
	flat_load_dword v7, v[25:26] glc
	s_waitcnt vmcnt(0) lgkmcnt(0)
	buffer_wbinvl1_vol
	v_cmp_eq_u32_e64 s[16:17], 0, v7
	s_and_b64 s[16:17], s[16:17], exec
	s_or_b64 s[78:79], s[78:79], s[16:17]
	s_and_saveexec_b64 s[88:89], s[78:79]
	s_cbranch_execz .LBB0_54
.LBB0_60:                               ;   in Loop: Header=BB0_56 Depth=2
	s_waitcnt vmcnt(0) lgkmcnt(0)
	v_add_co_u32_e64 v25, s[16:17], 8, v52
	v_addc_co_u32_e64 v26, s[16:17], 0, v53, s[16:17]
	v_cmp_ge_u64_e64 s[16:17], v[25:26], v[18:19]
	s_or_b64 s[76:77], s[76:77], exec
	s_orn2_b64 s[74:75], s[16:17], exec
	s_branch .LBB0_54
.LBB0_61:                               ;   in Loop: Header=BB0_50 Depth=1
	s_or_b64 exec, exec, s[56:57]
	s_xor_b64 s[16:17], s[58:59], -1
	s_and_saveexec_b64 s[56:57], s[16:17]
	s_xor_b64 s[16:17], exec, s[56:57]
	s_cbranch_execz .LBB0_63
; %bb.62:                               ;   in Loop: Header=BB0_50 Depth=1
	v_mov_b32_e32 v12, 1
	s_waitcnt lgkmcnt(0)
	ds_write_b32 v0, v7
	s_trap 2
.LBB0_63:                               ;   in Loop: Header=BB0_50 Depth=1
	s_or_b64 exec, exec, s[16:17]
	v_mov_b32_e32 v8, v12
.LBB0_64:                               ;   in Loop: Header=BB0_50 Depth=1
	s_or_b64 exec, exec, s[46:47]
	s_and_saveexec_b64 s[16:17], s[8:9]
	s_cbranch_execz .LBB0_66
; %bb.65:                               ;   in Loop: Header=BB0_50 Depth=1
	v_and_b32_e32 v7, 7, v15
	v_and_b32_e32 v25, 0x7ffffff8, v15
	v_mad_u64_u32 v[15:16], s[46:47], v7, 24, v[13:14]
	buffer_load_dword v7, off, s[0:3], s32 offset:64 ; 4-byte Folded Reload
	v_mov_b32_e32 v26, v17
	v_cmp_eq_u64_e32 vcc, s[42:43], v[25:26]
	s_waitcnt vmcnt(0)
	v_cndmask_b32_e32 v7, v7, v54, vcc
	v_lshlrev_b32_e32 v25, 4, v7
	v_ashrrev_i32_e32 v26, 31, v25
	flat_store_dwordx2 v[15:16], v[25:26] offset:8
	s_waitcnt vmcnt(0)
.LBB0_66:                               ;   in Loop: Header=BB0_50 Depth=1
	s_or_b64 exec, exec, s[16:17]
	v_mov_b32_e32 v15, v18
	v_mov_b32_e32 v16, v19
.LBB0_67:                               ;   in Loop: Header=BB0_50 Depth=1
	s_or_b64 exec, exec, s[44:45]
	s_and_saveexec_b64 s[16:17], s[10:11]
	s_cbranch_execz .LBB0_86
; %bb.68:                               ;   in Loop: Header=BB0_50 Depth=1
	s_and_saveexec_b64 s[44:45], s[28:29]
	s_xor_b64 s[44:45], exec, s[44:45]
	s_cbranch_execz .LBB0_83
; %bb.69:                               ;   in Loop: Header=BB0_50 Depth=1
	s_and_saveexec_b64 s[46:47], s[12:13]
	s_cbranch_execz .LBB0_82
; %bb.70:                               ;   in Loop: Header=BB0_50 Depth=1
	s_mov_b64 s[58:59], exec
	v_mbcnt_lo_u32_b32 v7, s58, 0
	v_mbcnt_hi_u32_b32 v7, s59, v7
	v_cmp_eq_u32_e32 vcc, 0, v7
	s_waitcnt vmcnt(0) lgkmcnt(0)
	buffer_wbinvl1_vol
	s_and_saveexec_b64 s[56:57], vcc
	s_cbranch_execz .LBB0_72
; %bb.71:                               ;   in Loop: Header=BB0_50 Depth=1
	s_bcnt1_i32_b64 s58, s[58:59]
	v_mov_b32_e32 v18, s58
	v_mov_b32_e32 v19, v17
	ds_add_u64 v0, v[18:19]
	s_trap 2
.LBB0_72:                               ;   in Loop: Header=BB0_50 Depth=1
	s_or_b64 exec, exec, s[56:57]
	s_trap 2
	ds_read_b64 v[18:19], v0
	s_waitcnt lgkmcnt(0)
	buffer_load_dword v7, off, s[0:3], s32 offset:68 ; 4-byte Folded Reload
	s_waitcnt vmcnt(0)
	v_add_co_u32_e32 v2, vcc, v2, v7
	v_addc_co_u32_e32 v3, vcc, 0, v3, vcc
	v_cmp_lt_u64_e32 vcc, v[18:19], v[2:3]
	s_and_saveexec_b64 s[56:57], vcc
	s_cbranch_execz .LBB0_81
; %bb.73:                               ;   in Loop: Header=BB0_50 Depth=1
	s_mov_b32 s78, 0
	s_mov_b64 s[58:59], 0
                                        ; implicit-def: $sgpr60_sgpr61
                                        ; implicit-def: $sgpr62_sgpr63
	s_branch .LBB0_75
.LBB0_74:                               ;   in Loop: Header=BB0_75 Depth=2
	s_or_b64 exec, exec, s[74:75]
	s_and_b64 s[72:73], exec, s[76:77]
	s_or_b64 s[58:59], s[72:73], s[58:59]
	s_andn2_b64 s[60:61], s[60:61], exec
	s_and_b64 s[72:73], s[62:63], exec
	s_or_b64 s[60:61], s[60:61], s[72:73]
	s_andn2_b64 exec, exec, s[58:59]
	s_cbranch_execz .LBB0_79
.LBB0_75:                               ;   Parent Loop BB0_50 Depth=1
                                        ; =>  This Inner Loop Header: Depth=2
	s_add_i32 s78, s78, 1
	s_cmpk_lg_i32 s78, 0x2710
	s_cselect_b64 s[72:73], -1, 0
	s_and_b64 vcc, exec, s[72:73]
	s_cbranch_vccz .LBB0_77
; %bb.76:                               ;   in Loop: Header=BB0_75 Depth=2
	s_mov_b64 s[76:77], -1
	s_or_b64 s[62:63], s[62:63], exec
	s_and_saveexec_b64 s[74:75], s[72:73]
	s_cbranch_execz .LBB0_74
	s_branch .LBB0_78
.LBB0_77:                               ;   in Loop: Header=BB0_75 Depth=2
	s_trap 2
	ds_read_b64 v[18:19], v0
	s_andn2_b64 s[72:73], s[72:73], exec
	s_mov_b32 s78, 0
	s_waitcnt lgkmcnt(0)
	flat_load_dword v7, v[18:19] glc
	s_waitcnt vmcnt(0) lgkmcnt(0)
	buffer_wbinvl1_vol
	v_cmp_eq_u32_e32 vcc, 0, v7
	s_and_b64 s[74:75], vcc, exec
	s_or_b64 s[72:73], s[72:73], s[74:75]
	s_mov_b64 s[76:77], -1
	s_or_b64 s[62:63], s[62:63], exec
	s_and_saveexec_b64 s[74:75], s[72:73]
	s_cbranch_execz .LBB0_74
.LBB0_78:                               ;   in Loop: Header=BB0_75 Depth=2
	s_sleep 1
	s_trap 2
	ds_read_b64 v[18:19], v0
	s_waitcnt lgkmcnt(0)
	s_andn2_b64 s[62:63], s[62:63], exec
	v_cmp_ge_u64_e32 vcc, v[18:19], v[2:3]
	s_orn2_b64 s[76:77], vcc, exec
	s_branch .LBB0_74
.LBB0_79:                               ;   in Loop: Header=BB0_50 Depth=1
	s_or_b64 exec, exec, s[58:59]
	s_and_saveexec_b64 s[58:59], s[60:61]
	s_xor_b64 s[58:59], exec, s[58:59]
	s_cbranch_execz .LBB0_81
; %bb.80:                               ;   in Loop: Header=BB0_50 Depth=1
	v_mov_b32_e32 v7, 1
	ds_write_b32 v0, v7
	s_trap 2
.LBB0_81:                               ;   in Loop: Header=BB0_50 Depth=1
	s_or_b64 exec, exec, s[56:57]
	;;#ASMSTART
	s_wakeup
	;;#ASMEND
.LBB0_82:                               ;   in Loop: Header=BB0_50 Depth=1
	s_or_b64 exec, exec, s[46:47]
.LBB0_83:                               ;   in Loop: Header=BB0_50 Depth=1
	s_andn2_saveexec_b64 s[44:45], s[44:45]
	s_cbranch_execz .LBB0_85
; %bb.84:                               ;   in Loop: Header=BB0_50 Depth=1
	s_waitcnt vmcnt(0) lgkmcnt(0)
	buffer_wbinvl1_vol
	s_barrier
.LBB0_85:                               ;   in Loop: Header=BB0_50 Depth=1
	s_or_b64 exec, exec, s[44:45]
.LBB0_86:                               ;   in Loop: Header=BB0_50 Depth=1
	s_or_b64 exec, exec, s[16:17]
	v_lshlrev_b32_e32 v7, 3, v4
	v_sub_u32_e32 v7, v63, v7
	v_cmp_lt_i32_e32 vcc, 0, v7
	v_mov_b32_e32 v56, v4
	s_and_saveexec_b64 s[44:45], vcc
	s_cbranch_execz .LBB0_112
; %bb.87:                               ;   in Loop: Header=BB0_50 Depth=1
	v_and_b32_e32 v9, 7, v46
	v_mul_lo_u32 v28, v9, v54
	v_lshlrev_b32_e32 v9, 3, v4
	v_not_b32_e32 v9, v9
	v_add_u32_e32 v12, v9, v63
	buffer_load_dword v9, off, s[0:3], s32 offset:76 ; 4-byte Folded Reload
	buffer_load_dword v26, off, s[0:3], s32 offset:72 ; 4-byte Folded Reload
	v_ashrrev_i32_e32 v29, 31, v28
	v_mov_b32_e32 v59, 0
	v_add_u32_e32 v19, 1, v46
	s_mov_b64 s[46:47], 0
	v_mov_b32_e32 v60, 0
	v_mov_b32_e32 v56, v4
	s_waitcnt vmcnt(0)
	v_add_co_u32_e32 v22, vcc, v9, v20
	buffer_load_dword v9, off, s[0:3], s32 offset:80 ; 4-byte Folded Reload
	s_waitcnt vmcnt(0)
	v_addc_co_u32_e32 v25, vcc, v9, v21, vcc
	buffer_load_dword v9, off, s[0:3], s32 offset:152 ; 4-byte Folded Reload
	v_lshlrev_b64 v[20:21], 4, v[28:29]
	s_waitcnt vmcnt(0)
	v_add_co_u32_e32 v57, vcc, v9, v20
	buffer_load_dword v9, off, s[0:3], s32 offset:156 ; 4-byte Folded Reload
	s_waitcnt vmcnt(0)
	v_addc_co_u32_e32 v58, vcc, v9, v21, vcc
	s_branch .LBB0_89
.LBB0_88:                               ;   in Loop: Header=BB0_89 Depth=2
	v_add_co_u32_e32 v59, vcc, v59, v31
	v_sub_u32_e32 v7, v7, v31
	v_addc_co_u32_e32 v60, vcc, 0, v60, vcc
	v_cmp_gt_i32_e32 vcc, 1, v7
	v_lshlrev_b32_e32 v9, 6, v1
	s_or_b64 s[46:47], vcc, s[46:47]
	v_add_co_u32_e32 v57, vcc, v57, v40
	v_add_u32_e32 v56, v56, v1
	v_add_u32_e32 v26, v26, v9
	v_addc_co_u32_e32 v58, vcc, v58, v41, vcc
	s_andn2_b64 exec, exec, s[46:47]
	s_cbranch_execz .LBB0_111
.LBB0_89:                               ;   Parent Loop BB0_50 Depth=1
                                        ; =>  This Inner Loop Header: Depth=2
	v_add_co_u32_e32 v9, vcc, v5, v59
	v_addc_co_u32_e32 v21, vcc, v6, v60, vcc
	v_and_b32_e32 v20, -4, v9
	global_load_dword v18, v[20:21], off glc slc
	v_min_u32_e32 v28, 8, v7
	v_and_b32_e32 v9, 3, v9
	v_add_u32_e32 v29, v9, v28
	v_cmp_lt_u32_e32 vcc, 4, v29
	v_mov_b32_e32 v28, 0
	v_mov_b32_e32 v55, 0
	s_and_saveexec_b64 s[16:17], vcc
	s_cbranch_execz .LBB0_91
; %bb.90:                               ;   in Loop: Header=BB0_89 Depth=2
	global_load_dword v55, v[20:21], off offset:4 glc slc
.LBB0_91:                               ;   in Loop: Header=BB0_89 Depth=2
	s_or_b64 exec, exec, s[16:17]
	v_mov_b32_e32 v30, v17
	v_cmp_lt_u64_e32 vcc, 8, v[29:30]
	s_and_saveexec_b64 s[16:17], vcc
	s_cbranch_execz .LBB0_93
; %bb.92:                               ;   in Loop: Header=BB0_89 Depth=2
	global_load_dword v28, v[20:21], off offset:8 glc slc
.LBB0_93:                               ;   in Loop: Header=BB0_89 Depth=2
	s_or_b64 exec, exec, s[16:17]
	v_add_co_u32_e32 v61, vcc, v22, v59
	v_addc_co_u32_e32 v62, vcc, v25, v60, vcc
	v_cmp_lt_u32_e32 vcc, 7, v7
	s_waitcnt vmcnt(0)
	v_alignbit_b32 v18, v55, v18, v26
	v_alignbit_b32 v20, v28, v55, v26
	v_mov_b32_e32 v21, v19
	s_cmp_lg_u64 vcc, exec
	s_mov_b64 s[16:17], -1
	global_store_dwordx4 v[57:58], v[18:21], off
	s_cbranch_scc0 .LBB0_103
; %bb.94:                               ;   in Loop: Header=BB0_89 Depth=2
	v_cmp_ne_u32_e64 s[16:17], v12, v59
	flat_store_byte v[61:62], v18
	s_and_saveexec_b64 s[56:57], s[16:17]
	s_cbranch_execnz .LBB0_105
; %bb.95:                               ;   in Loop: Header=BB0_89 Depth=2
	s_or_b64 exec, exec, s[56:57]
	v_cmp_lt_u32_e64 s[16:17], 2, v7
	s_and_saveexec_b64 s[56:57], s[16:17]
	s_cbranch_execnz .LBB0_106
.LBB0_96:                               ;   in Loop: Header=BB0_89 Depth=2
	s_or_b64 exec, exec, s[56:57]
	v_cmp_lt_u32_e64 s[16:17], 3, v7
	s_and_saveexec_b64 s[56:57], s[16:17]
	s_cbranch_execnz .LBB0_107
.LBB0_97:                               ;   in Loop: Header=BB0_89 Depth=2
	s_or_b64 exec, exec, s[56:57]
	v_cmp_lt_u32_e64 s[16:17], 4, v7
	s_and_saveexec_b64 s[56:57], s[16:17]
	s_cbranch_execnz .LBB0_108
.LBB0_98:                               ;   in Loop: Header=BB0_89 Depth=2
	s_or_b64 exec, exec, s[56:57]
	v_cmp_lt_u32_e64 s[16:17], 5, v7
	s_and_saveexec_b64 s[56:57], s[16:17]
	s_cbranch_execnz .LBB0_109
.LBB0_99:                               ;   in Loop: Header=BB0_89 Depth=2
	s_or_b64 exec, exec, s[56:57]
	v_cmp_lt_u32_e64 s[16:17], 6, v7
	s_and_saveexec_b64 s[56:57], s[16:17]
	s_cbranch_execnz .LBB0_110
.LBB0_100:                              ;   in Loop: Header=BB0_89 Depth=2
	s_or_b64 exec, exec, s[56:57]
	s_and_saveexec_b64 s[16:17], vcc
	s_cbranch_execz .LBB0_102
.LBB0_101:                              ;   in Loop: Header=BB0_89 Depth=2
	v_lshrrev_b32_e32 v9, 24, v20
	flat_store_byte v[61:62], v9 offset:7
.LBB0_102:                              ;   in Loop: Header=BB0_89 Depth=2
	s_or_b64 exec, exec, s[16:17]
	s_mov_b64 s[16:17], 0
.LBB0_103:                              ;   in Loop: Header=BB0_89 Depth=2
	s_and_b64 vcc, exec, s[16:17]
	s_cbranch_vccz .LBB0_88
; %bb.104:                              ;   in Loop: Header=BB0_89 Depth=2
	v_mov_b32_e32 v28, v18
	v_mov_b32_e32 v29, v20
	global_store_dwordx2 v[61:62], v[28:29], off
	s_branch .LBB0_88
.LBB0_105:                              ;   in Loop: Header=BB0_89 Depth=2
	v_lshrrev_b32_e32 v9, 8, v18
	flat_store_byte v[61:62], v9 offset:1
	s_or_b64 exec, exec, s[56:57]
	v_cmp_lt_u32_e64 s[16:17], 2, v7
	s_and_saveexec_b64 s[56:57], s[16:17]
	s_cbranch_execz .LBB0_96
.LBB0_106:                              ;   in Loop: Header=BB0_89 Depth=2
	flat_store_byte_d16_hi v[61:62], v18 offset:2
	s_or_b64 exec, exec, s[56:57]
	v_cmp_lt_u32_e64 s[16:17], 3, v7
	s_and_saveexec_b64 s[56:57], s[16:17]
	s_cbranch_execz .LBB0_97
.LBB0_107:                              ;   in Loop: Header=BB0_89 Depth=2
	v_lshrrev_b32_e32 v9, 24, v18
	flat_store_byte v[61:62], v9 offset:3
	s_or_b64 exec, exec, s[56:57]
	v_cmp_lt_u32_e64 s[16:17], 4, v7
	s_and_saveexec_b64 s[56:57], s[16:17]
	s_cbranch_execz .LBB0_98
.LBB0_108:                              ;   in Loop: Header=BB0_89 Depth=2
	flat_store_byte v[61:62], v20 offset:4
	s_or_b64 exec, exec, s[56:57]
	v_cmp_lt_u32_e64 s[16:17], 5, v7
	s_and_saveexec_b64 s[56:57], s[16:17]
	s_cbranch_execz .LBB0_99
.LBB0_109:                              ;   in Loop: Header=BB0_89 Depth=2
	v_lshrrev_b32_e32 v9, 8, v20
	flat_store_byte v[61:62], v9 offset:5
	s_or_b64 exec, exec, s[56:57]
	v_cmp_lt_u32_e64 s[16:17], 6, v7
	s_and_saveexec_b64 s[56:57], s[16:17]
	s_cbranch_execz .LBB0_100
.LBB0_110:                              ;   in Loop: Header=BB0_89 Depth=2
	flat_store_byte_d16_hi v[61:62], v20 offset:6
	s_or_b64 exec, exec, s[56:57]
	s_and_saveexec_b64 s[16:17], vcc
	s_cbranch_execnz .LBB0_101
	s_branch .LBB0_102
.LBB0_111:                              ;   in Loop: Header=BB0_50 Depth=1
	s_or_b64 exec, exec, s[46:47]
	buffer_load_dword v18, off, s[0:3], s32 offset:92 ; 4-byte Folded Reload
	buffer_load_dword v19, off, s[0:3], s32 offset:96 ; 4-byte Folded Reload
	;; [unrolled: 1-line block ×4, first 2 shown]
	s_waitcnt vmcnt(0)
	v_mov_b32_e32 v29, v21
	v_mov_b32_e32 v28, v20
.LBB0_112:                              ;   in Loop: Header=BB0_50 Depth=1
	s_or_b64 exec, exec, s[44:45]
	v_and_b32_e32 v18, 0x7ffffff8, v46
	v_mov_b32_e32 v19, v17
	v_cmp_eq_u64_e32 vcc, s[42:43], v[18:19]
	v_cmp_lt_i32_e64 s[16:17], v56, v54
	s_and_b64 s[16:17], vcc, s[16:17]
	s_and_saveexec_b64 s[44:45], s[16:17]
	s_cbranch_execz .LBB0_115
; %bb.113:                              ;   in Loop: Header=BB0_50 Depth=1
	v_and_b32_e32 v7, 7, v46
	v_mul_lo_u32 v19, v7, v54
	v_ashrrev_i32_e32 v57, 31, v56
	v_lshlrev_b64 v[21:22], 4, v[56:57]
	v_add_u32_e32 v18, 1, v46
	v_ashrrev_i32_e32 v20, 31, v19
	v_lshlrev_b64 v[19:20], 4, v[19:20]
	s_mov_b64 s[46:47], 0
	v_add_co_u32_e32 v7, vcc, v21, v19
	v_addc_co_u32_e32 v9, vcc, v22, v20, vcc
	v_add_co_u32_e32 v21, vcc, v36, v7
	v_addc_co_u32_e32 v22, vcc, v37, v9, vcc
.LBB0_114:                              ;   Parent Loop BB0_50 Depth=1
                                        ; =>  This Inner Loop Header: Depth=2
	v_mov_b32_e32 v19, v17
	v_mov_b32_e32 v20, v18
	v_add_u32_e32 v56, v56, v1
	global_store_dwordx4 v[21:22], v[17:20], off
	v_add_co_u32_e32 v21, vcc, v21, v40
	v_cmp_ge_i32_e64 s[16:17], v56, v54
	s_or_b64 s[46:47], s[16:17], s[46:47]
	v_addc_co_u32_e32 v22, vcc, v22, v41, vcc
	s_andn2_b64 exec, exec, s[46:47]
	s_cbranch_execnz .LBB0_114
.LBB0_115:                              ;   in Loop: Header=BB0_50 Depth=1
	s_or_b64 exec, exec, s[44:45]
.LBB0_116:                              ;   in Loop: Header=BB0_50 Depth=1
	s_andn2_saveexec_b64 s[18:19], s[18:19]
	s_cbranch_execz .LBB0_164
; %bb.117:                              ;   in Loop: Header=BB0_50 Depth=1
	s_and_saveexec_b64 s[44:45], s[6:7]
	s_cbranch_execz .LBB0_133
; %bb.118:                              ;   in Loop: Header=BB0_50 Depth=1
	v_add_co_u32_e32 v18, vcc, 1, v15
	v_addc_co_u32_e32 v19, vcc, 0, v16, vcc
	s_waitcnt vmcnt(0) lgkmcnt(0)
	v_add_co_u32_e32 v20, vcc, 8, v52
	v_addc_co_u32_e32 v21, vcc, 0, v53, vcc
	v_cmp_lt_u64_e32 vcc, v[20:21], v[18:19]
	s_and_saveexec_b64 s[46:47], vcc
	s_cbranch_execz .LBB0_130
; %bb.119:                              ;   in Loop: Header=BB0_50 Depth=1
	s_mov_b32 s92, 0
	v_cmp_eq_u32_e32 vcc, 0, v8
	s_mov_b64 s[56:57], 0
                                        ; implicit-def: $sgpr58_sgpr59
                                        ; implicit-def: $sgpr60_sgpr61
                                        ; implicit-def: $sgpr62_sgpr63
	s_branch .LBB0_122
.LBB0_120:                              ;   in Loop: Header=BB0_122 Depth=2
	s_or_b64 exec, exec, s[88:89]
	s_andn2_b64 s[16:17], s[62:63], exec
	s_and_b64 s[62:63], s[76:77], exec
	s_or_b64 s[62:63], s[16:17], s[62:63]
	s_andn2_b64 s[16:17], s[60:61], exec
	s_and_b64 s[60:61], s[74:75], exec
	v_mov_b32_e32 v12, 0
	s_or_b64 s[60:61], s[16:17], s[60:61]
.LBB0_121:                              ;   in Loop: Header=BB0_122 Depth=2
	s_or_b64 exec, exec, s[72:73]
	s_and_b64 s[16:17], exec, s[60:61]
	s_or_b64 s[56:57], s[16:17], s[56:57]
	s_andn2_b64 s[16:17], s[58:59], exec
	s_and_b64 s[58:59], s[62:63], exec
	s_or_b64 s[58:59], s[16:17], s[58:59]
	s_andn2_b64 exec, exec, s[56:57]
	s_cbranch_execz .LBB0_127
.LBB0_122:                              ;   Parent Loop BB0_50 Depth=1
                                        ; =>  This Inner Loop Header: Depth=2
	s_sleep 1
	s_waitcnt vmcnt(0) lgkmcnt(0)
	flat_load_dwordx2 v[52:53], v[50:51] glc
	s_or_b64 s[62:63], s[62:63], exec
	s_or_b64 s[60:61], s[60:61], exec
	v_mov_b32_e32 v12, v8
                                        ; implicit-def: $vgpr7
	s_and_saveexec_b64 s[72:73], vcc
	s_cbranch_execz .LBB0_121
; %bb.123:                              ;   in Loop: Header=BB0_122 Depth=2
	s_add_i32 s92, s92, 1
	s_cmpk_lg_i32 s92, 0x2710
	s_cselect_b64 s[78:79], -1, 0
	s_cmpk_eq_i32 s92, 0x2710
	s_mov_b64 s[74:75], -1
	s_mov_b64 s[76:77], -1
                                        ; implicit-def: $vgpr7
	s_cbranch_scc1 .LBB0_125
; %bb.124:                              ;   in Loop: Header=BB0_122 Depth=2
	s_and_saveexec_b64 s[88:89], s[78:79]
	s_cbranch_execz .LBB0_120
	s_branch .LBB0_126
.LBB0_125:                              ;   in Loop: Header=BB0_122 Depth=2
	s_trap 2
	ds_read_b64 v[20:21], v0
	s_andn2_b64 s[78:79], s[78:79], exec
	s_mov_b32 s92, 0
	s_mov_b64 s[76:77], 0
	s_waitcnt vmcnt(0) lgkmcnt(0)
	flat_load_dword v7, v[20:21] glc
	s_waitcnt vmcnt(0) lgkmcnt(0)
	buffer_wbinvl1_vol
	v_cmp_eq_u32_e64 s[16:17], 0, v7
	s_and_b64 s[16:17], s[16:17], exec
	s_or_b64 s[78:79], s[78:79], s[16:17]
	s_and_saveexec_b64 s[88:89], s[78:79]
	s_cbranch_execz .LBB0_120
.LBB0_126:                              ;   in Loop: Header=BB0_122 Depth=2
	s_waitcnt vmcnt(0) lgkmcnt(0)
	v_add_co_u32_e64 v20, s[16:17], 8, v52
	v_addc_co_u32_e64 v21, s[16:17], 0, v53, s[16:17]
	v_cmp_ge_u64_e64 s[16:17], v[20:21], v[18:19]
	s_or_b64 s[76:77], s[76:77], exec
	s_orn2_b64 s[74:75], s[16:17], exec
	s_branch .LBB0_120
.LBB0_127:                              ;   in Loop: Header=BB0_50 Depth=1
	s_or_b64 exec, exec, s[56:57]
	s_xor_b64 s[16:17], s[58:59], -1
	s_and_saveexec_b64 s[56:57], s[16:17]
	s_xor_b64 s[16:17], exec, s[56:57]
	s_cbranch_execz .LBB0_129
; %bb.128:                              ;   in Loop: Header=BB0_50 Depth=1
	v_mov_b32_e32 v12, 1
	s_waitcnt lgkmcnt(0)
	ds_write_b32 v0, v7
	s_trap 2
.LBB0_129:                              ;   in Loop: Header=BB0_50 Depth=1
	s_or_b64 exec, exec, s[16:17]
	v_mov_b32_e32 v8, v12
.LBB0_130:                              ;   in Loop: Header=BB0_50 Depth=1
	s_or_b64 exec, exec, s[46:47]
	s_and_saveexec_b64 s[16:17], s[8:9]
	s_cbranch_execz .LBB0_132
; %bb.131:                              ;   in Loop: Header=BB0_50 Depth=1
	v_and_b32_e32 v7, 7, v15
	v_and_b32_e32 v20, 0x7ffffff8, v15
	v_mad_u64_u32 v[15:16], s[46:47], v7, 24, v[13:14]
	buffer_load_dword v7, off, s[0:3], s32 offset:64 ; 4-byte Folded Reload
	v_mov_b32_e32 v21, v17
	v_cmp_eq_u64_e32 vcc, s[42:43], v[20:21]
	s_waitcnt vmcnt(0)
	v_cndmask_b32_e32 v7, v7, v54, vcc
	v_lshlrev_b32_e32 v20, 4, v7
	v_ashrrev_i32_e32 v21, 31, v20
	flat_store_dwordx2 v[15:16], v[20:21] offset:8
	s_waitcnt vmcnt(0)
.LBB0_132:                              ;   in Loop: Header=BB0_50 Depth=1
	s_or_b64 exec, exec, s[16:17]
	v_mov_b32_e32 v15, v18
	v_mov_b32_e32 v16, v19
.LBB0_133:                              ;   in Loop: Header=BB0_50 Depth=1
	s_or_b64 exec, exec, s[44:45]
	s_and_saveexec_b64 s[16:17], s[10:11]
	s_cbranch_execz .LBB0_152
; %bb.134:                              ;   in Loop: Header=BB0_50 Depth=1
	s_and_saveexec_b64 s[44:45], s[28:29]
	s_xor_b64 s[44:45], exec, s[44:45]
	s_cbranch_execz .LBB0_149
; %bb.135:                              ;   in Loop: Header=BB0_50 Depth=1
	s_and_saveexec_b64 s[46:47], s[12:13]
	s_cbranch_execz .LBB0_148
; %bb.136:                              ;   in Loop: Header=BB0_50 Depth=1
	s_mov_b64 s[58:59], exec
	v_mbcnt_lo_u32_b32 v7, s58, 0
	v_mbcnt_hi_u32_b32 v7, s59, v7
	v_cmp_eq_u32_e32 vcc, 0, v7
	s_waitcnt vmcnt(0) lgkmcnt(0)
	buffer_wbinvl1_vol
	s_and_saveexec_b64 s[56:57], vcc
	s_cbranch_execz .LBB0_138
; %bb.137:                              ;   in Loop: Header=BB0_50 Depth=1
	s_bcnt1_i32_b64 s58, s[58:59]
	v_mov_b32_e32 v18, s58
	v_mov_b32_e32 v19, v17
	ds_add_u64 v0, v[18:19]
	s_trap 2
.LBB0_138:                              ;   in Loop: Header=BB0_50 Depth=1
	s_or_b64 exec, exec, s[56:57]
	s_trap 2
	ds_read_b64 v[18:19], v0
	s_waitcnt lgkmcnt(0)
	buffer_load_dword v7, off, s[0:3], s32 offset:68 ; 4-byte Folded Reload
	s_waitcnt vmcnt(0)
	v_add_co_u32_e32 v2, vcc, v2, v7
	v_addc_co_u32_e32 v3, vcc, 0, v3, vcc
	v_cmp_lt_u64_e32 vcc, v[18:19], v[2:3]
	s_and_saveexec_b64 s[56:57], vcc
	s_cbranch_execz .LBB0_147
; %bb.139:                              ;   in Loop: Header=BB0_50 Depth=1
	s_mov_b32 s78, 0
	s_mov_b64 s[58:59], 0
                                        ; implicit-def: $sgpr60_sgpr61
                                        ; implicit-def: $sgpr62_sgpr63
	s_branch .LBB0_141
.LBB0_140:                              ;   in Loop: Header=BB0_141 Depth=2
	s_or_b64 exec, exec, s[74:75]
	s_and_b64 s[72:73], exec, s[76:77]
	s_or_b64 s[58:59], s[72:73], s[58:59]
	s_andn2_b64 s[60:61], s[60:61], exec
	s_and_b64 s[72:73], s[62:63], exec
	s_or_b64 s[60:61], s[60:61], s[72:73]
	s_andn2_b64 exec, exec, s[58:59]
	s_cbranch_execz .LBB0_145
.LBB0_141:                              ;   Parent Loop BB0_50 Depth=1
                                        ; =>  This Inner Loop Header: Depth=2
	s_add_i32 s78, s78, 1
	s_cmpk_lg_i32 s78, 0x2710
	s_cselect_b64 s[72:73], -1, 0
	s_and_b64 vcc, exec, s[72:73]
	s_cbranch_vccz .LBB0_143
; %bb.142:                              ;   in Loop: Header=BB0_141 Depth=2
	s_mov_b64 s[76:77], -1
	s_or_b64 s[62:63], s[62:63], exec
	s_and_saveexec_b64 s[74:75], s[72:73]
	s_cbranch_execz .LBB0_140
	s_branch .LBB0_144
.LBB0_143:                              ;   in Loop: Header=BB0_141 Depth=2
	s_trap 2
	ds_read_b64 v[18:19], v0
	s_andn2_b64 s[72:73], s[72:73], exec
	s_mov_b32 s78, 0
	s_waitcnt lgkmcnt(0)
	flat_load_dword v7, v[18:19] glc
	s_waitcnt vmcnt(0) lgkmcnt(0)
	buffer_wbinvl1_vol
	v_cmp_eq_u32_e32 vcc, 0, v7
	s_and_b64 s[74:75], vcc, exec
	s_or_b64 s[72:73], s[72:73], s[74:75]
	s_mov_b64 s[76:77], -1
	s_or_b64 s[62:63], s[62:63], exec
	s_and_saveexec_b64 s[74:75], s[72:73]
	s_cbranch_execz .LBB0_140
.LBB0_144:                              ;   in Loop: Header=BB0_141 Depth=2
	s_sleep 1
	s_trap 2
	ds_read_b64 v[18:19], v0
	s_waitcnt lgkmcnt(0)
	s_andn2_b64 s[62:63], s[62:63], exec
	v_cmp_ge_u64_e32 vcc, v[18:19], v[2:3]
	s_orn2_b64 s[76:77], vcc, exec
	s_branch .LBB0_140
.LBB0_145:                              ;   in Loop: Header=BB0_50 Depth=1
	s_or_b64 exec, exec, s[58:59]
	s_and_saveexec_b64 s[58:59], s[60:61]
	s_xor_b64 s[58:59], exec, s[58:59]
	s_cbranch_execz .LBB0_147
; %bb.146:                              ;   in Loop: Header=BB0_50 Depth=1
	v_mov_b32_e32 v7, 1
	ds_write_b32 v0, v7
	s_trap 2
.LBB0_147:                              ;   in Loop: Header=BB0_50 Depth=1
	s_or_b64 exec, exec, s[56:57]
	;;#ASMSTART
	s_wakeup
	;;#ASMEND
.LBB0_148:                              ;   in Loop: Header=BB0_50 Depth=1
	s_or_b64 exec, exec, s[46:47]
.LBB0_149:                              ;   in Loop: Header=BB0_50 Depth=1
	s_andn2_saveexec_b64 s[44:45], s[44:45]
	s_cbranch_execz .LBB0_151
; %bb.150:                              ;   in Loop: Header=BB0_50 Depth=1
	s_waitcnt vmcnt(0) lgkmcnt(0)
	buffer_wbinvl1_vol
	s_barrier
.LBB0_151:                              ;   in Loop: Header=BB0_50 Depth=1
	s_or_b64 exec, exec, s[44:45]
.LBB0_152:                              ;   in Loop: Header=BB0_50 Depth=1
	s_or_b64 exec, exec, s[16:17]
	v_lshlrev_b32_e32 v7, 3, v4
	v_sub_u32_e32 v12, v63, v7
	v_cmp_lt_i32_e32 vcc, 0, v12
	v_and_b32_e32 v7, 7, v46
	v_add_u32_e32 v19, 1, v46
	v_mov_b32_e32 v56, v4
	s_and_saveexec_b64 s[16:17], vcc
	s_cbranch_execz .LBB0_160
; %bb.153:                              ;   in Loop: Header=BB0_50 Depth=1
	buffer_load_dword v9, off, s[0:3], s32 offset:152 ; 4-byte Folded Reload
	buffer_load_dword v22, off, s[0:3], s32 offset:72 ; 4-byte Folded Reload
	v_mul_lo_u32 v20, v7, v54
	v_mov_b32_e32 v30, v6
	s_mov_b64 s[44:45], 0
	v_mov_b32_e32 v29, v5
	v_ashrrev_i32_e32 v21, 31, v20
	v_lshlrev_b64 v[20:21], 4, v[20:21]
	v_mov_b32_e32 v56, v4
	s_waitcnt vmcnt(0)
	v_add_co_u32_e32 v57, vcc, v9, v20
	buffer_load_dword v9, off, s[0:3], s32 offset:156 ; 4-byte Folded Reload
	s_waitcnt vmcnt(0)
	v_addc_co_u32_e32 v58, vcc, v9, v21, vcc
	s_branch .LBB0_155
.LBB0_154:                              ;   in Loop: Header=BB0_155 Depth=2
	s_or_b64 exec, exec, s[46:47]
	v_add_co_u32_e32 v29, vcc, v29, v31
	v_sub_u32_e32 v12, v12, v31
	v_addc_co_u32_e32 v30, vcc, 0, v30, vcc
	s_waitcnt vmcnt(0)
	v_alignbit_b32 v18, v26, v18, v22
	v_alignbit_b32 v20, v25, v26, v22
	v_mov_b32_e32 v21, v19
	v_cmp_gt_i32_e32 vcc, 1, v12
	global_store_dwordx4 v[57:58], v[18:21], off
	v_lshlrev_b32_e32 v9, 6, v1
	s_or_b64 s[44:45], vcc, s[44:45]
	v_add_co_u32_e32 v57, vcc, v57, v40
	v_add_u32_e32 v56, v56, v1
	v_add_u32_e32 v22, v22, v9
	v_addc_co_u32_e32 v58, vcc, v58, v41, vcc
	s_andn2_b64 exec, exec, s[44:45]
	s_cbranch_execz .LBB0_159
.LBB0_155:                              ;   Parent Loop BB0_50 Depth=1
                                        ; =>  This Inner Loop Header: Depth=2
	v_and_b32_e32 v20, -4, v29
	v_mov_b32_e32 v21, v30
	global_load_dword v18, v[20:21], off glc slc
	v_min_u32_e32 v9, 8, v12
	v_and_b32_e32 v25, 3, v29
	v_add_u32_e32 v59, v25, v9
	v_cmp_lt_u32_e32 vcc, 4, v59
	v_mov_b32_e32 v25, 0
	v_mov_b32_e32 v26, 0
	s_and_saveexec_b64 s[46:47], vcc
	s_cbranch_execz .LBB0_157
; %bb.156:                              ;   in Loop: Header=BB0_155 Depth=2
	global_load_dword v26, v[20:21], off offset:4 glc slc
.LBB0_157:                              ;   in Loop: Header=BB0_155 Depth=2
	s_or_b64 exec, exec, s[46:47]
	v_mov_b32_e32 v60, v17
	v_cmp_lt_u64_e32 vcc, 8, v[59:60]
	s_and_saveexec_b64 s[46:47], vcc
	s_cbranch_execz .LBB0_154
; %bb.158:                              ;   in Loop: Header=BB0_155 Depth=2
	global_load_dword v25, v[20:21], off offset:8 glc slc
	s_branch .LBB0_154
.LBB0_159:                              ;   in Loop: Header=BB0_50 Depth=1
	s_or_b64 exec, exec, s[44:45]
	buffer_load_dword v57, off, s[0:3], s32 offset:92 ; 4-byte Folded Reload
	buffer_load_dword v58, off, s[0:3], s32 offset:96 ; 4-byte Folded Reload
	;; [unrolled: 1-line block ×4, first 2 shown]
	s_waitcnt vmcnt(0)
	v_mov_b32_e32 v28, v59
	v_mov_b32_e32 v29, v60
.LBB0_160:                              ;   in Loop: Header=BB0_50 Depth=1
	s_or_b64 exec, exec, s[16:17]
	v_and_b32_e32 v20, 0x7ffffff8, v46
	v_mov_b32_e32 v21, v17
	v_cmp_eq_u64_e32 vcc, s[42:43], v[20:21]
	v_cmp_lt_i32_e64 s[16:17], v56, v54
	s_and_b64 s[16:17], vcc, s[16:17]
	s_and_saveexec_b64 s[44:45], s[16:17]
	s_cbranch_execz .LBB0_163
; %bb.161:                              ;   in Loop: Header=BB0_50 Depth=1
	v_mul_lo_u32 v20, v7, v54
	v_ashrrev_i32_e32 v57, 31, v56
	v_mov_b32_e32 v18, v19
	v_lshlrev_b64 v[25:26], 4, v[56:57]
	v_ashrrev_i32_e32 v21, 31, v20
	v_lshlrev_b64 v[19:20], 4, v[20:21]
	s_mov_b64 s[46:47], 0
	v_add_co_u32_e32 v7, vcc, v25, v19
	v_addc_co_u32_e32 v9, vcc, v26, v20, vcc
	v_add_co_u32_e32 v21, vcc, v36, v7
	v_addc_co_u32_e32 v22, vcc, v37, v9, vcc
.LBB0_162:                              ;   Parent Loop BB0_50 Depth=1
                                        ; =>  This Inner Loop Header: Depth=2
	v_mov_b32_e32 v19, v17
	v_mov_b32_e32 v20, v18
	v_add_u32_e32 v56, v56, v1
	global_store_dwordx4 v[21:22], v[17:20], off
	v_add_co_u32_e32 v21, vcc, v21, v40
	v_cmp_ge_i32_e64 s[16:17], v56, v54
	s_or_b64 s[46:47], s[16:17], s[46:47]
	v_addc_co_u32_e32 v22, vcc, v22, v41, vcc
	s_andn2_b64 exec, exec, s[46:47]
	s_cbranch_execnz .LBB0_162
.LBB0_163:                              ;   in Loop: Header=BB0_50 Depth=1
	s_or_b64 exec, exec, s[44:45]
.LBB0_164:                              ;   in Loop: Header=BB0_50 Depth=1
	s_or_b64 exec, exec, s[18:19]
	v_lshlrev_b32_e32 v7, 3, v4
	s_mov_b64 s[16:17], -1
	s_andn2_b64 vcc, exec, s[40:41]
	v_sub_u32_e32 v7, v63, v7
                                        ; implicit-def: $vgpr12
	s_cbranch_vccnz .LBB0_166
; %bb.165:                              ;   in Loop: Header=BB0_50 Depth=1
	v_lshlrev_b32_e32 v9, 3, v4
	v_sub_u32_e32 v12, v63, v9
	s_mov_b64 s[16:17], 0
.LBB0_166:                              ;   in Loop: Header=BB0_50 Depth=1
	s_andn2_b64 vcc, exec, s[16:17]
	v_add_co_u32_e64 v56, s[16:17], 1, v46
	v_addc_co_u32_e64 v57, s[16:17], 0, v47, s[16:17]
	s_cbranch_vccnz .LBB0_263
; %bb.167:                              ;   in Loop: Header=BB0_50 Depth=1
	buffer_load_dword v9, off, s[0:3], s32 offset:144 ; 4-byte Folded Reload
	v_cmp_lt_i32_e64 s[16:17], 0, v7
	s_mov_b32 s92, 1
	s_waitcnt vmcnt(0)
	v_add_co_u32_e32 v58, vcc, v9, v10
	buffer_load_dword v9, off, s[0:3], s32 offset:148 ; 4-byte Folded Reload
	v_add_u16_e32 v10, 1, v46
	s_waitcnt vmcnt(0)
	v_addc_co_u32_e32 v59, vcc, v9, v11, vcc
.LBB0_168:                              ;   Parent Loop BB0_50 Depth=1
                                        ; =>  This Loop Header: Depth=2
                                        ;       Child Loop BB0_173 Depth 3
                                        ;       Child Loop BB0_192 Depth 3
	;; [unrolled: 1-line block ×3, first 2 shown]
                                        ;         Child Loop BB0_218 Depth 4
                                        ;       Child Loop BB0_252 Depth 3
                                        ;       Child Loop BB0_209 Depth 3
	s_sub_i32 s18, s90, s92
	s_ashr_i32 s19, s18, 31
	s_lshl_b64 s[18:19], s[18:19], 2
	v_mov_b32_e32 v9, s19
	v_add_co_u32_e32 v11, vcc, s18, v23
	v_addc_co_u32_e32 v12, vcc, v24, v9, vcc
	flat_load_dword v11, v[11:12]
	s_and_saveexec_b64 s[44:45], s[6:7]
	s_cbranch_execz .LBB0_184
; %bb.169:                              ;   in Loop: Header=BB0_168 Depth=2
	v_add_co_u32_e32 v18, vcc, 1, v15
	v_addc_co_u32_e32 v19, vcc, 0, v16, vcc
	s_waitcnt lgkmcnt(0)
	v_add_co_u32_e32 v20, vcc, 8, v52
	v_addc_co_u32_e32 v21, vcc, 0, v53, vcc
	v_cmp_lt_u64_e32 vcc, v[20:21], v[18:19]
	s_and_saveexec_b64 s[46:47], vcc
	s_cbranch_execz .LBB0_181
; %bb.170:                              ;   in Loop: Header=BB0_168 Depth=2
	s_mov_b32 s93, 0
	v_cmp_eq_u32_e32 vcc, 0, v8
	s_mov_b64 s[56:57], 0
                                        ; implicit-def: $sgpr58_sgpr59
                                        ; implicit-def: $sgpr60_sgpr61
                                        ; implicit-def: $sgpr62_sgpr63
	s_branch .LBB0_173
.LBB0_171:                              ;   in Loop: Header=BB0_173 Depth=3
	s_or_b64 exec, exec, s[88:89]
	s_andn2_b64 s[18:19], s[62:63], exec
	s_and_b64 s[62:63], s[76:77], exec
	s_or_b64 s[62:63], s[18:19], s[62:63]
	s_andn2_b64 s[18:19], s[60:61], exec
	s_and_b64 s[60:61], s[74:75], exec
	v_mov_b32_e32 v16, 0
	s_or_b64 s[60:61], s[18:19], s[60:61]
.LBB0_172:                              ;   in Loop: Header=BB0_173 Depth=3
	s_or_b64 exec, exec, s[72:73]
	s_and_b64 s[18:19], exec, s[60:61]
	s_or_b64 s[56:57], s[18:19], s[56:57]
	s_andn2_b64 s[18:19], s[58:59], exec
	s_and_b64 s[58:59], s[62:63], exec
	s_or_b64 s[58:59], s[18:19], s[58:59]
	s_andn2_b64 exec, exec, s[56:57]
	s_cbranch_execz .LBB0_178
.LBB0_173:                              ;   Parent Loop BB0_50 Depth=1
                                        ;     Parent Loop BB0_168 Depth=2
                                        ; =>    This Inner Loop Header: Depth=3
	s_sleep 1
	s_waitcnt vmcnt(0) lgkmcnt(0)
	flat_load_dwordx2 v[52:53], v[50:51] glc
	s_or_b64 s[62:63], s[62:63], exec
	s_or_b64 s[60:61], s[60:61], exec
	v_mov_b32_e32 v16, v8
                                        ; implicit-def: $vgpr12
	s_and_saveexec_b64 s[72:73], vcc
	s_cbranch_execz .LBB0_172
; %bb.174:                              ;   in Loop: Header=BB0_173 Depth=3
	s_add_i32 s93, s93, 1
	s_cmpk_lg_i32 s93, 0x2710
	s_cselect_b64 s[78:79], -1, 0
	s_cmpk_eq_i32 s93, 0x2710
	s_mov_b64 s[74:75], -1
	s_mov_b64 s[76:77], -1
                                        ; implicit-def: $vgpr12
	s_cbranch_scc1 .LBB0_176
; %bb.175:                              ;   in Loop: Header=BB0_173 Depth=3
	s_and_saveexec_b64 s[88:89], s[78:79]
	s_cbranch_execz .LBB0_171
	s_branch .LBB0_177
.LBB0_176:                              ;   in Loop: Header=BB0_173 Depth=3
	s_trap 2
	ds_read_b64 v[20:21], v0
	s_andn2_b64 s[78:79], s[78:79], exec
	s_mov_b32 s93, 0
	s_mov_b64 s[76:77], 0
	s_waitcnt vmcnt(0) lgkmcnt(0)
	flat_load_dword v12, v[20:21] glc
	s_waitcnt vmcnt(0) lgkmcnt(0)
	buffer_wbinvl1_vol
	v_cmp_eq_u32_e64 s[18:19], 0, v12
	s_and_b64 s[18:19], s[18:19], exec
	s_or_b64 s[78:79], s[78:79], s[18:19]
	s_and_saveexec_b64 s[88:89], s[78:79]
	s_cbranch_execz .LBB0_171
.LBB0_177:                              ;   in Loop: Header=BB0_173 Depth=3
	s_waitcnt vmcnt(0) lgkmcnt(0)
	v_add_co_u32_e64 v20, s[18:19], 8, v52
	v_addc_co_u32_e64 v21, s[18:19], 0, v53, s[18:19]
	v_cmp_ge_u64_e64 s[18:19], v[20:21], v[18:19]
	s_or_b64 s[76:77], s[76:77], exec
	s_orn2_b64 s[74:75], s[18:19], exec
	s_branch .LBB0_171
.LBB0_178:                              ;   in Loop: Header=BB0_168 Depth=2
	s_or_b64 exec, exec, s[56:57]
	s_xor_b64 s[18:19], s[58:59], -1
	s_and_saveexec_b64 s[56:57], s[18:19]
	s_xor_b64 s[18:19], exec, s[56:57]
	s_cbranch_execz .LBB0_180
; %bb.179:                              ;   in Loop: Header=BB0_168 Depth=2
	v_mov_b32_e32 v16, 1
	s_waitcnt lgkmcnt(0)
	ds_write_b32 v0, v12
	s_trap 2
.LBB0_180:                              ;   in Loop: Header=BB0_168 Depth=2
	s_or_b64 exec, exec, s[18:19]
	v_mov_b32_e32 v8, v16
.LBB0_181:                              ;   in Loop: Header=BB0_168 Depth=2
	s_or_b64 exec, exec, s[46:47]
	s_and_saveexec_b64 s[18:19], s[8:9]
	s_cbranch_execz .LBB0_183
; %bb.182:                              ;   in Loop: Header=BB0_168 Depth=2
	v_and_b32_e32 v9, 7, v15
	v_and_b32_e32 v20, 0x7ffffff8, v15
	v_mad_u64_u32 v[15:16], s[46:47], v9, 24, v[13:14]
	buffer_load_dword v9, off, s[0:3], s32 offset:64 ; 4-byte Folded Reload
	v_mov_b32_e32 v21, v17
	v_cmp_eq_u64_e32 vcc, s[42:43], v[20:21]
	s_waitcnt vmcnt(0)
	v_cndmask_b32_e32 v9, v9, v54, vcc
	v_lshlrev_b32_e32 v20, 4, v9
	v_ashrrev_i32_e32 v21, 31, v20
	flat_store_dwordx2 v[15:16], v[20:21] offset:8
	s_waitcnt vmcnt(0)
.LBB0_183:                              ;   in Loop: Header=BB0_168 Depth=2
	s_or_b64 exec, exec, s[18:19]
	v_mov_b32_e32 v15, v18
	v_mov_b32_e32 v16, v19
.LBB0_184:                              ;   in Loop: Header=BB0_168 Depth=2
	s_or_b64 exec, exec, s[44:45]
	s_and_saveexec_b64 s[18:19], s[10:11]
	s_cbranch_execz .LBB0_203
; %bb.185:                              ;   in Loop: Header=BB0_168 Depth=2
	s_and_saveexec_b64 s[44:45], s[28:29]
	s_xor_b64 s[44:45], exec, s[44:45]
	s_cbranch_execz .LBB0_200
; %bb.186:                              ;   in Loop: Header=BB0_168 Depth=2
	s_and_saveexec_b64 s[46:47], s[12:13]
	s_cbranch_execz .LBB0_199
; %bb.187:                              ;   in Loop: Header=BB0_168 Depth=2
	s_mov_b64 s[58:59], exec
	v_mbcnt_lo_u32_b32 v9, s58, 0
	v_mbcnt_hi_u32_b32 v9, s59, v9
	v_cmp_eq_u32_e32 vcc, 0, v9
	s_waitcnt vmcnt(0) lgkmcnt(0)
	buffer_wbinvl1_vol
	s_and_saveexec_b64 s[56:57], vcc
	s_cbranch_execz .LBB0_189
; %bb.188:                              ;   in Loop: Header=BB0_168 Depth=2
	s_bcnt1_i32_b64 s58, s[58:59]
	v_mov_b32_e32 v18, s58
	v_mov_b32_e32 v19, v17
	ds_add_u64 v0, v[18:19]
	s_trap 2
.LBB0_189:                              ;   in Loop: Header=BB0_168 Depth=2
	s_or_b64 exec, exec, s[56:57]
	s_trap 2
	ds_read_b64 v[18:19], v0
	s_waitcnt lgkmcnt(0)
	buffer_load_dword v9, off, s[0:3], s32 offset:68 ; 4-byte Folded Reload
	s_waitcnt vmcnt(0)
	v_add_co_u32_e32 v2, vcc, v2, v9
	v_addc_co_u32_e32 v3, vcc, 0, v3, vcc
	v_cmp_lt_u64_e32 vcc, v[18:19], v[2:3]
	s_and_saveexec_b64 s[56:57], vcc
	s_cbranch_execz .LBB0_198
; %bb.190:                              ;   in Loop: Header=BB0_168 Depth=2
	s_mov_b32 s78, 0
	s_mov_b64 s[58:59], 0
                                        ; implicit-def: $sgpr60_sgpr61
                                        ; implicit-def: $sgpr62_sgpr63
	s_branch .LBB0_192
.LBB0_191:                              ;   in Loop: Header=BB0_192 Depth=3
	s_or_b64 exec, exec, s[74:75]
	s_and_b64 s[72:73], exec, s[76:77]
	s_or_b64 s[58:59], s[72:73], s[58:59]
	s_andn2_b64 s[60:61], s[60:61], exec
	s_and_b64 s[72:73], s[62:63], exec
	s_or_b64 s[60:61], s[60:61], s[72:73]
	s_andn2_b64 exec, exec, s[58:59]
	s_cbranch_execz .LBB0_196
.LBB0_192:                              ;   Parent Loop BB0_50 Depth=1
                                        ;     Parent Loop BB0_168 Depth=2
                                        ; =>    This Inner Loop Header: Depth=3
	s_add_i32 s78, s78, 1
	s_cmpk_lg_i32 s78, 0x2710
	s_cselect_b64 s[72:73], -1, 0
	s_and_b64 vcc, exec, s[72:73]
	s_cbranch_vccz .LBB0_194
; %bb.193:                              ;   in Loop: Header=BB0_192 Depth=3
	s_mov_b64 s[76:77], -1
	s_or_b64 s[62:63], s[62:63], exec
	s_and_saveexec_b64 s[74:75], s[72:73]
	s_cbranch_execz .LBB0_191
	s_branch .LBB0_195
.LBB0_194:                              ;   in Loop: Header=BB0_192 Depth=3
	s_trap 2
	ds_read_b64 v[18:19], v0
	s_andn2_b64 s[72:73], s[72:73], exec
	s_mov_b32 s78, 0
	s_waitcnt lgkmcnt(0)
	flat_load_dword v9, v[18:19] glc
	s_waitcnt vmcnt(0) lgkmcnt(0)
	buffer_wbinvl1_vol
	v_cmp_eq_u32_e32 vcc, 0, v9
	s_and_b64 s[74:75], vcc, exec
	s_or_b64 s[72:73], s[72:73], s[74:75]
	s_mov_b64 s[76:77], -1
	s_or_b64 s[62:63], s[62:63], exec
	s_and_saveexec_b64 s[74:75], s[72:73]
	s_cbranch_execz .LBB0_191
.LBB0_195:                              ;   in Loop: Header=BB0_192 Depth=3
	s_sleep 1
	s_trap 2
	ds_read_b64 v[18:19], v0
	s_waitcnt lgkmcnt(0)
	s_andn2_b64 s[62:63], s[62:63], exec
	v_cmp_ge_u64_e32 vcc, v[18:19], v[2:3]
	s_orn2_b64 s[76:77], vcc, exec
	s_branch .LBB0_191
.LBB0_196:                              ;   in Loop: Header=BB0_168 Depth=2
	s_or_b64 exec, exec, s[58:59]
	s_and_saveexec_b64 s[58:59], s[60:61]
	s_xor_b64 s[58:59], exec, s[58:59]
	s_cbranch_execz .LBB0_198
; %bb.197:                              ;   in Loop: Header=BB0_168 Depth=2
	v_mov_b32_e32 v9, 1
	ds_write_b32 v0, v9
	s_trap 2
.LBB0_198:                              ;   in Loop: Header=BB0_168 Depth=2
	s_or_b64 exec, exec, s[56:57]
	;;#ASMSTART
	s_wakeup
	;;#ASMEND
.LBB0_199:                              ;   in Loop: Header=BB0_168 Depth=2
	s_or_b64 exec, exec, s[46:47]
.LBB0_200:                              ;   in Loop: Header=BB0_168 Depth=2
	s_andn2_saveexec_b64 s[44:45], s[44:45]
	s_cbranch_execz .LBB0_202
; %bb.201:                              ;   in Loop: Header=BB0_168 Depth=2
	s_waitcnt vmcnt(0) lgkmcnt(0)
	buffer_wbinvl1_vol
	s_barrier
.LBB0_202:                              ;   in Loop: Header=BB0_168 Depth=2
	s_or_b64 exec, exec, s[44:45]
.LBB0_203:                              ;   in Loop: Header=BB0_168 Depth=2
	s_or_b64 exec, exec, s[18:19]
	v_add_u32_e32 v18, 1, v56
	v_mov_b32_e32 v46, v4
	s_and_saveexec_b64 s[44:45], s[16:17]
	s_cbranch_execnz .LBB0_212
; %bb.204:                              ;   in Loop: Header=BB0_168 Depth=2
	s_or_b64 exec, exec, s[44:45]
	s_and_saveexec_b64 s[18:19], s[10:11]
	s_cbranch_execnz .LBB0_245
.LBB0_205:                              ;   in Loop: Header=BB0_168 Depth=2
	s_or_b64 exec, exec, s[18:19]
	s_and_saveexec_b64 s[18:19], s[14:15]
	s_cbranch_execz .LBB0_207
.LBB0_206:                              ;   in Loop: Header=BB0_168 Depth=2
	v_add_co_u32_e32 v38, vcc, 1, v38
	v_addc_co_u32_e32 v39, vcc, 0, v39, vcc
	flat_store_dwordx2 v[48:49], v[38:39]
.LBB0_207:                              ;   in Loop: Header=BB0_168 Depth=2
	s_or_b64 exec, exec, s[18:19]
	s_waitcnt vmcnt(0) lgkmcnt(0)
	v_and_b32_e32 v11, 0x7ffffff8, v56
	v_mov_b32_e32 v12, v17
	v_cmp_eq_u64_e32 vcc, s[42:43], v[11:12]
	v_cmp_lt_i32_e64 s[18:19], v46, v54
	s_and_b64 s[18:19], vcc, s[18:19]
	s_and_saveexec_b64 s[44:45], s[18:19]
	s_cbranch_execz .LBB0_210
; %bb.208:                              ;   in Loop: Header=BB0_168 Depth=2
	v_and_b32_e32 v9, 7, v10
	v_mul_lo_u32 v11, v54, v9
	v_ashrrev_i32_e32 v47, 31, v46
	v_lshlrev_b64 v[19:20], 4, v[46:47]
	s_mov_b64 s[46:47], 0
	v_ashrrev_i32_e32 v12, 31, v11
	v_lshlrev_b64 v[11:12], 4, v[11:12]
	v_add_co_u32_e32 v9, vcc, v19, v11
	v_addc_co_u32_e32 v11, vcc, v20, v12, vcc
	v_add_co_u32_e32 v21, vcc, v36, v9
	v_addc_co_u32_e32 v22, vcc, v37, v11, vcc
.LBB0_209:                              ;   Parent Loop BB0_50 Depth=1
                                        ;     Parent Loop BB0_168 Depth=2
                                        ; =>    This Inner Loop Header: Depth=3
	v_mov_b32_e32 v19, v17
	v_mov_b32_e32 v20, v18
	v_add_u32_e32 v46, v46, v1
	global_store_dwordx4 v[21:22], v[17:20], off
	v_add_co_u32_e32 v21, vcc, v21, v40
	v_cmp_ge_i32_e64 s[18:19], v46, v54
	s_or_b64 s[46:47], s[18:19], s[46:47]
	v_addc_co_u32_e32 v22, vcc, v22, v41, vcc
	s_andn2_b64 exec, exec, s[46:47]
	s_cbranch_execnz .LBB0_209
.LBB0_210:                              ;   in Loop: Header=BB0_168 Depth=2
	s_or_b64 exec, exec, s[44:45]
	v_add_co_u32_e32 v34, vcc, 1, v34
	v_addc_co_u32_e32 v35, vcc, 0, v35, vcc
	s_add_i32 s18, s92, 1
	v_add_co_u32_e32 v56, vcc, 1, v56
	v_addc_co_u32_e32 v57, vcc, 0, v57, vcc
	s_cmp_eq_u32 s92, s91
	v_add_u16_e32 v10, 1, v10
	s_cbranch_scc1 .LBB0_264
; %bb.211:                              ;   in Loop: Header=BB0_168 Depth=2
	s_mov_b32 s92, s18
	s_branch .LBB0_168
.LBB0_212:                              ;   in Loop: Header=BB0_168 Depth=2
	s_waitcnt vmcnt(0) lgkmcnt(0)
	v_ashrrev_i32_e32 v9, 31, v11
	v_mad_u64_u32 v[60:61], s[18:19], v0, v11, v[58:59]
	v_mul_lo_u32 v12, v27, v11
	v_mul_lo_u32 v9, v0, v9
	v_and_b32_e32 v11, 7, v34
	v_mul_lo_u32 v11, v11, v54
	v_add_u32_e32 v25, 1, v34
	v_add3_u32 v61, v12, v61, v9
	v_and_b32_e32 v9, 7, v56
	v_mul_lo_u32 v19, v9, v54
	v_ashrrev_i32_e32 v12, 31, v11
	v_lshlrev_b64 v[11:12], 4, v[11:12]
	s_mov_b64 s[46:47], 0
	v_ashrrev_i32_e32 v20, 31, v19
	v_add_co_u32_e32 v11, vcc, v32, v11
	v_lshlrev_b64 v[19:20], 4, v[19:20]
	v_addc_co_u32_e32 v55, vcc, v33, v12, vcc
	v_add_co_u32_e32 v26, vcc, v36, v19
	v_addc_co_u32_e32 v28, vcc, v37, v20, vcc
	v_mov_b32_e32 v12, v7
	v_mov_b32_e32 v46, v4
	s_branch .LBB0_214
.LBB0_213:                              ;   in Loop: Header=BB0_214 Depth=3
	v_add_co_u32_e32 v60, vcc, v60, v31
	v_addc_co_u32_e32 v61, vcc, 0, v61, vcc
	v_sub_u32_e32 v12, v12, v31
	v_cmp_gt_i32_e32 vcc, 1, v12
	s_or_b64 s[46:47], vcc, s[46:47]
	v_add_u32_e32 v46, v46, v1
	s_andn2_b64 exec, exec, s[46:47]
	s_cbranch_execz .LBB0_244
.LBB0_214:                              ;   Parent Loop BB0_50 Depth=1
                                        ;     Parent Loop BB0_168 Depth=2
                                        ; =>    This Loop Header: Depth=3
                                        ;         Child Loop BB0_218 Depth 4
	v_ashrrev_i32_e32 v47, 31, v46
	v_lshlrev_b64 v[62:63], 4, v[46:47]
	v_add_co_u32_e32 v29, vcc, v11, v62
	v_addc_co_u32_e32 v30, vcc, v55, v63, vcc
	global_load_dwordx4 v[19:22], v[29:30], off glc slc
	v_cmp_eq_u32_e32 vcc, 0, v8
	s_and_saveexec_b64 s[56:57], vcc
	s_cbranch_execz .LBB0_226
; %bb.215:                              ;   in Loop: Header=BB0_214 Depth=3
	s_waitcnt vmcnt(0)
	v_cmp_ne_u32_e32 vcc, v25, v20
	v_cmp_ne_u32_e64 s[18:19], v25, v22
	s_or_b64 s[18:19], vcc, s[18:19]
	v_mov_b32_e32 v8, 0
	s_and_saveexec_b64 s[58:59], s[18:19]
	s_cbranch_execz .LBB0_225
; %bb.216:                              ;   in Loop: Header=BB0_214 Depth=3
	s_mov_b32 s78, 1
	s_mov_b64 s[62:63], 0
                                        ; implicit-def: $sgpr60_sgpr61
                                        ; implicit-def: $sgpr72_sgpr73
	s_branch .LBB0_218
.LBB0_217:                              ;   in Loop: Header=BB0_218 Depth=4
	s_or_b64 exec, exec, s[76:77]
	s_and_b64 s[18:19], exec, s[18:19]
	s_or_b64 s[62:63], s[18:19], s[62:63]
	s_andn2_b64 s[18:19], s[60:61], exec
	s_and_b64 s[60:61], s[72:73], exec
	s_or_b64 s[60:61], s[18:19], s[60:61]
	s_andn2_b64 exec, exec, s[62:63]
	s_cbranch_execz .LBB0_222
.LBB0_218:                              ;   Parent Loop BB0_50 Depth=1
                                        ;     Parent Loop BB0_168 Depth=2
                                        ;       Parent Loop BB0_214 Depth=3
                                        ; =>      This Inner Loop Header: Depth=4
	global_load_dwordx4 v[19:22], v[29:30], off glc slc
	s_add_i32 s78, s78, 1
	s_mov_b64 s[18:19], -1
	s_cmpk_lg_i32 s78, 0x2710
	s_mov_b64 s[74:75], -1
                                        ; implicit-def: $vgpr47
	s_cbranch_scc0 .LBB0_220
; %bb.219:                              ;   in Loop: Header=BB0_218 Depth=4
	s_or_b64 s[72:73], s[72:73], exec
	s_and_saveexec_b64 s[76:77], s[74:75]
	s_cbranch_execz .LBB0_217
	s_branch .LBB0_221
.LBB0_220:                              ;   in Loop: Header=BB0_218 Depth=4
	s_trap 2
	ds_read_b64 v[8:9], v0
	s_mov_b32 s78, 0
	s_waitcnt vmcnt(0) lgkmcnt(0)
	flat_load_dword v47, v[8:9] glc
	s_waitcnt vmcnt(0) lgkmcnt(0)
	buffer_wbinvl1_vol
	v_cmp_eq_u32_e32 vcc, 0, v47
	s_orn2_b64 s[74:75], vcc, exec
	s_or_b64 s[72:73], s[72:73], exec
	s_and_saveexec_b64 s[76:77], s[74:75]
	s_cbranch_execz .LBB0_217
.LBB0_221:                              ;   in Loop: Header=BB0_218 Depth=4
	s_waitcnt vmcnt(0)
	v_cmp_eq_u32_e32 vcc, v25, v20
	v_cmp_eq_u32_e64 s[18:19], v25, v22
	s_and_b64 s[18:19], vcc, s[18:19]
	s_andn2_b64 s[72:73], s[72:73], exec
	s_orn2_b64 s[18:19], s[18:19], exec
	s_branch .LBB0_217
.LBB0_222:                              ;   in Loop: Header=BB0_214 Depth=3
	s_or_b64 exec, exec, s[62:63]
	v_mov_b32_e32 v8, 0
	s_and_saveexec_b64 s[18:19], s[60:61]
	s_xor_b64 s[18:19], exec, s[18:19]
	s_cbranch_execz .LBB0_224
; %bb.223:                              ;   in Loop: Header=BB0_214 Depth=3
	v_mov_b32_e32 v8, 1
	ds_write_b32 v0, v47
	s_trap 2
.LBB0_224:                              ;   in Loop: Header=BB0_214 Depth=3
	s_or_b64 exec, exec, s[18:19]
.LBB0_225:                              ;   in Loop: Header=BB0_214 Depth=3
	s_or_b64 exec, exec, s[58:59]
.LBB0_226:                              ;   in Loop: Header=BB0_214 Depth=3
	s_or_b64 exec, exec, s[56:57]
	v_add_co_u32_e32 v29, vcc, v26, v62
	v_addc_co_u32_e32 v30, vcc, v28, v63, vcc
	v_cmp_lt_u32_e32 vcc, 7, v12
	s_waitcnt vmcnt(0)
	v_mov_b32_e32 v20, v18
	v_mov_b32_e32 v22, v18
	s_cmp_lg_u64 vcc, exec
	s_mov_b64 s[18:19], -1
	global_store_dwordx4 v[29:30], v[19:22], off
	s_cbranch_scc0 .LBB0_236
; %bb.227:                              ;   in Loop: Header=BB0_214 Depth=3
	v_cmp_ne_u32_e64 s[18:19], 1, v12
	flat_store_byte v[60:61], v19
	s_and_saveexec_b64 s[56:57], s[18:19]
	s_cbranch_execnz .LBB0_238
; %bb.228:                              ;   in Loop: Header=BB0_214 Depth=3
	s_or_b64 exec, exec, s[56:57]
	v_cmp_lt_u32_e64 s[18:19], 2, v12
	s_and_saveexec_b64 s[56:57], s[18:19]
	s_cbranch_execnz .LBB0_239
.LBB0_229:                              ;   in Loop: Header=BB0_214 Depth=3
	s_or_b64 exec, exec, s[56:57]
	v_cmp_lt_u32_e64 s[18:19], 3, v12
	s_and_saveexec_b64 s[56:57], s[18:19]
	s_cbranch_execnz .LBB0_240
.LBB0_230:                              ;   in Loop: Header=BB0_214 Depth=3
	s_or_b64 exec, exec, s[56:57]
	v_cmp_lt_u32_e64 s[18:19], 4, v12
	s_and_saveexec_b64 s[56:57], s[18:19]
	s_cbranch_execnz .LBB0_241
.LBB0_231:                              ;   in Loop: Header=BB0_214 Depth=3
	s_or_b64 exec, exec, s[56:57]
	v_cmp_lt_u32_e64 s[18:19], 5, v12
	s_and_saveexec_b64 s[56:57], s[18:19]
	s_cbranch_execnz .LBB0_242
.LBB0_232:                              ;   in Loop: Header=BB0_214 Depth=3
	s_or_b64 exec, exec, s[56:57]
	v_cmp_lt_u32_e64 s[18:19], 6, v12
	s_and_saveexec_b64 s[56:57], s[18:19]
	s_cbranch_execnz .LBB0_243
.LBB0_233:                              ;   in Loop: Header=BB0_214 Depth=3
	s_or_b64 exec, exec, s[56:57]
	s_and_saveexec_b64 s[18:19], vcc
	s_cbranch_execz .LBB0_235
.LBB0_234:                              ;   in Loop: Header=BB0_214 Depth=3
	v_lshrrev_b32_e32 v9, 24, v21
	flat_store_byte v[60:61], v9 offset:7
.LBB0_235:                              ;   in Loop: Header=BB0_214 Depth=3
	s_or_b64 exec, exec, s[18:19]
	s_mov_b64 s[18:19], 0
.LBB0_236:                              ;   in Loop: Header=BB0_214 Depth=3
	s_and_b64 vcc, exec, s[18:19]
	s_cbranch_vccz .LBB0_213
; %bb.237:                              ;   in Loop: Header=BB0_214 Depth=3
	v_mov_b32_e32 v20, v21
	global_store_dwordx2 v[60:61], v[19:20], off
	s_branch .LBB0_213
.LBB0_238:                              ;   in Loop: Header=BB0_214 Depth=3
	v_lshrrev_b32_e32 v9, 8, v19
	flat_store_byte v[60:61], v9 offset:1
	s_or_b64 exec, exec, s[56:57]
	v_cmp_lt_u32_e64 s[18:19], 2, v12
	s_and_saveexec_b64 s[56:57], s[18:19]
	s_cbranch_execz .LBB0_229
.LBB0_239:                              ;   in Loop: Header=BB0_214 Depth=3
	flat_store_byte_d16_hi v[60:61], v19 offset:2
	s_or_b64 exec, exec, s[56:57]
	v_cmp_lt_u32_e64 s[18:19], 3, v12
	s_and_saveexec_b64 s[56:57], s[18:19]
	s_cbranch_execz .LBB0_230
.LBB0_240:                              ;   in Loop: Header=BB0_214 Depth=3
	v_lshrrev_b32_e32 v9, 24, v19
	flat_store_byte v[60:61], v9 offset:3
	s_or_b64 exec, exec, s[56:57]
	v_cmp_lt_u32_e64 s[18:19], 4, v12
	s_and_saveexec_b64 s[56:57], s[18:19]
	s_cbranch_execz .LBB0_231
.LBB0_241:                              ;   in Loop: Header=BB0_214 Depth=3
	flat_store_byte v[60:61], v21 offset:4
	s_or_b64 exec, exec, s[56:57]
	v_cmp_lt_u32_e64 s[18:19], 5, v12
	s_and_saveexec_b64 s[56:57], s[18:19]
	s_cbranch_execz .LBB0_232
.LBB0_242:                              ;   in Loop: Header=BB0_214 Depth=3
	v_lshrrev_b32_e32 v9, 8, v21
	flat_store_byte v[60:61], v9 offset:5
	s_or_b64 exec, exec, s[56:57]
	v_cmp_lt_u32_e64 s[18:19], 6, v12
	s_and_saveexec_b64 s[56:57], s[18:19]
	s_cbranch_execz .LBB0_233
.LBB0_243:                              ;   in Loop: Header=BB0_214 Depth=3
	flat_store_byte_d16_hi v[60:61], v21 offset:6
	s_or_b64 exec, exec, s[56:57]
	s_and_saveexec_b64 s[18:19], vcc
	s_cbranch_execnz .LBB0_234
	s_branch .LBB0_235
.LBB0_244:                              ;   in Loop: Header=BB0_168 Depth=2
	s_or_b64 exec, exec, s[46:47]
	s_or_b64 exec, exec, s[44:45]
	s_and_saveexec_b64 s[18:19], s[10:11]
	s_cbranch_execz .LBB0_205
.LBB0_245:                              ;   in Loop: Header=BB0_168 Depth=2
	s_and_saveexec_b64 s[44:45], s[28:29]
	s_xor_b64 s[44:45], exec, s[44:45]
	s_cbranch_execz .LBB0_260
; %bb.246:                              ;   in Loop: Header=BB0_168 Depth=2
	s_and_saveexec_b64 s[46:47], s[12:13]
	s_cbranch_execz .LBB0_259
; %bb.247:                              ;   in Loop: Header=BB0_168 Depth=2
	s_mov_b64 s[58:59], exec
	v_mbcnt_lo_u32_b32 v9, s58, 0
	v_mbcnt_hi_u32_b32 v9, s59, v9
	v_cmp_eq_u32_e32 vcc, 0, v9
	s_waitcnt vmcnt(0) lgkmcnt(0)
	buffer_wbinvl1_vol
	s_and_saveexec_b64 s[56:57], vcc
	s_cbranch_execz .LBB0_249
; %bb.248:                              ;   in Loop: Header=BB0_168 Depth=2
	s_bcnt1_i32_b64 s58, s[58:59]
	v_mov_b32_e32 v11, s58
	v_mov_b32_e32 v12, v17
	ds_add_u64 v0, v[11:12]
	s_trap 2
.LBB0_249:                              ;   in Loop: Header=BB0_168 Depth=2
	s_or_b64 exec, exec, s[56:57]
	s_trap 2
	ds_read_b64 v[11:12], v0
	s_waitcnt lgkmcnt(0)
	buffer_load_dword v9, off, s[0:3], s32 offset:68 ; 4-byte Folded Reload
	s_waitcnt vmcnt(0)
	v_add_co_u32_e32 v2, vcc, v2, v9
	v_addc_co_u32_e32 v3, vcc, 0, v3, vcc
	v_cmp_lt_u64_e32 vcc, v[11:12], v[2:3]
	s_and_saveexec_b64 s[56:57], vcc
	s_cbranch_execz .LBB0_258
; %bb.250:                              ;   in Loop: Header=BB0_168 Depth=2
	s_mov_b32 s78, 0
	s_mov_b64 s[58:59], 0
                                        ; implicit-def: $sgpr60_sgpr61
                                        ; implicit-def: $sgpr62_sgpr63
	s_branch .LBB0_252
.LBB0_251:                              ;   in Loop: Header=BB0_252 Depth=3
	s_or_b64 exec, exec, s[74:75]
	s_and_b64 s[72:73], exec, s[76:77]
	s_or_b64 s[58:59], s[72:73], s[58:59]
	s_andn2_b64 s[60:61], s[60:61], exec
	s_and_b64 s[72:73], s[62:63], exec
	s_or_b64 s[60:61], s[60:61], s[72:73]
	s_andn2_b64 exec, exec, s[58:59]
	s_cbranch_execz .LBB0_256
.LBB0_252:                              ;   Parent Loop BB0_50 Depth=1
                                        ;     Parent Loop BB0_168 Depth=2
                                        ; =>    This Inner Loop Header: Depth=3
	s_add_i32 s78, s78, 1
	s_cmpk_lg_i32 s78, 0x2710
	s_cselect_b64 s[72:73], -1, 0
	s_and_b64 vcc, exec, s[72:73]
	s_cbranch_vccz .LBB0_254
; %bb.253:                              ;   in Loop: Header=BB0_252 Depth=3
	s_mov_b64 s[76:77], -1
	s_or_b64 s[62:63], s[62:63], exec
	s_and_saveexec_b64 s[74:75], s[72:73]
	s_cbranch_execz .LBB0_251
	s_branch .LBB0_255
.LBB0_254:                              ;   in Loop: Header=BB0_252 Depth=3
	s_trap 2
	ds_read_b64 v[11:12], v0
	s_andn2_b64 s[72:73], s[72:73], exec
	s_mov_b32 s78, 0
	s_waitcnt lgkmcnt(0)
	flat_load_dword v9, v[11:12] glc
	s_waitcnt vmcnt(0) lgkmcnt(0)
	buffer_wbinvl1_vol
	v_cmp_eq_u32_e32 vcc, 0, v9
	s_and_b64 s[74:75], vcc, exec
	s_or_b64 s[72:73], s[72:73], s[74:75]
	s_mov_b64 s[76:77], -1
	s_or_b64 s[62:63], s[62:63], exec
	s_and_saveexec_b64 s[74:75], s[72:73]
	s_cbranch_execz .LBB0_251
.LBB0_255:                              ;   in Loop: Header=BB0_252 Depth=3
	s_sleep 1
	s_trap 2
	ds_read_b64 v[11:12], v0
	s_waitcnt lgkmcnt(0)
	s_andn2_b64 s[62:63], s[62:63], exec
	v_cmp_ge_u64_e32 vcc, v[11:12], v[2:3]
	s_orn2_b64 s[76:77], vcc, exec
	s_branch .LBB0_251
.LBB0_256:                              ;   in Loop: Header=BB0_168 Depth=2
	s_or_b64 exec, exec, s[58:59]
	s_and_saveexec_b64 s[58:59], s[60:61]
	s_xor_b64 s[58:59], exec, s[58:59]
	s_cbranch_execz .LBB0_258
; %bb.257:                              ;   in Loop: Header=BB0_168 Depth=2
	v_mov_b32_e32 v9, 1
	ds_write_b32 v0, v9
	s_trap 2
.LBB0_258:                              ;   in Loop: Header=BB0_168 Depth=2
	s_or_b64 exec, exec, s[56:57]
	;;#ASMSTART
	s_wakeup
	;;#ASMEND
.LBB0_259:                              ;   in Loop: Header=BB0_168 Depth=2
	s_or_b64 exec, exec, s[46:47]
.LBB0_260:                              ;   in Loop: Header=BB0_168 Depth=2
	s_andn2_saveexec_b64 s[44:45], s[44:45]
	s_cbranch_execz .LBB0_262
; %bb.261:                              ;   in Loop: Header=BB0_168 Depth=2
	s_waitcnt vmcnt(0) lgkmcnt(0)
	buffer_wbinvl1_vol
	s_barrier
.LBB0_262:                              ;   in Loop: Header=BB0_168 Depth=2
	s_or_b64 exec, exec, s[44:45]
	s_or_b64 exec, exec, s[18:19]
	s_and_saveexec_b64 s[18:19], s[14:15]
	s_cbranch_execnz .LBB0_206
	s_branch .LBB0_207
.LBB0_263:                              ;   in Loop: Header=BB0_50 Depth=1
	v_mov_b32_e32 v46, v56
	v_mov_b32_e32 v47, v57
	;; [unrolled: 1-line block ×3, first 2 shown]
	v_cmp_lt_i32_e32 vcc, 0, v7
	s_and_saveexec_b64 s[18:19], vcc
	s_cbranch_execnz .LBB0_265
	s_branch .LBB0_298
.LBB0_264:                              ;   in Loop: Header=BB0_50 Depth=1
	buffer_load_dword v9, off, s[0:3], s32 offset:92 ; 4-byte Folded Reload
	buffer_load_dword v10, off, s[0:3], s32 offset:96 ; 4-byte Folded Reload
	;; [unrolled: 1-line block ×4, first 2 shown]
	v_mov_b32_e32 v46, v56
	v_mov_b32_e32 v47, v57
	s_waitcnt vmcnt(0)
	v_mov_b32_e32 v29, v12
	v_mov_b32_e32 v28, v11
	v_cmp_lt_i32_e32 vcc, 0, v7
	s_and_saveexec_b64 s[18:19], vcc
	s_cbranch_execz .LBB0_298
.LBB0_265:                              ;   in Loop: Header=BB0_50 Depth=1
	flat_load_dword v11, v[23:24] offset:4
	s_mov_b64 s[44:45], 0
	v_mov_b32_e32 v56, v4
	s_waitcnt vmcnt(0) lgkmcnt(0)
	v_ashrrev_i32_e32 v12, 31, v11
	v_mad_u64_u32 v[9:10], s[16:17], v0, v11, v[44:45]
	v_mul_lo_u32 v11, v27, v11
	v_mul_lo_u32 v12, v0, v12
	v_add3_u32 v10, v11, v10, v12
	v_lshlrev_b32_e32 v11, 3, v4
	v_add_co_u32_e32 v44, vcc, v9, v11
	buffer_load_dword v9, off, s[0:3], s32 offset:140 ; 4-byte Folded Reload
	v_add_u32_e32 v11, 1, v34
	s_waitcnt vmcnt(0)
	v_addc_co_u32_e32 v45, vcc, v10, v9, vcc
	v_and_b32_e32 v9, 7, v34
	v_mul_lo_u32 v9, v9, v54
	v_ashrrev_i32_e32 v10, 31, v9
	v_lshlrev_b64 v[9:10], 4, v[9:10]
	v_add_co_u32_e32 v9, vcc, v32, v9
	v_addc_co_u32_e32 v10, vcc, v33, v10, vcc
	s_branch .LBB0_267
.LBB0_266:                              ;   in Loop: Header=BB0_267 Depth=2
	v_add_co_u32_e32 v44, vcc, v44, v31
	v_addc_co_u32_e32 v45, vcc, 0, v45, vcc
	v_sub_u32_e32 v7, v7, v31
	v_cmp_gt_i32_e32 vcc, 1, v7
	s_or_b64 s[44:45], vcc, s[44:45]
	v_add_u32_e32 v56, v56, v1
	s_andn2_b64 exec, exec, s[44:45]
	s_cbranch_execz .LBB0_297
.LBB0_267:                              ;   Parent Loop BB0_50 Depth=1
                                        ; =>  This Loop Header: Depth=2
                                        ;       Child Loop BB0_271 Depth 3
	v_ashrrev_i32_e32 v57, 31, v56
	s_waitcnt vmcnt(0)
	v_lshlrev_b64 v[18:19], 4, v[56:57]
	v_add_co_u32_e32 v57, vcc, v9, v18
	v_addc_co_u32_e32 v58, vcc, v10, v19, vcc
	global_load_dwordx4 v[18:21], v[57:58], off glc slc
	v_cmp_eq_u32_e32 vcc, 0, v8
	s_and_saveexec_b64 s[46:47], vcc
	s_cbranch_execz .LBB0_279
; %bb.268:                              ;   in Loop: Header=BB0_267 Depth=2
	s_waitcnt vmcnt(0)
	v_cmp_ne_u32_e32 vcc, v11, v19
	v_cmp_ne_u32_e64 s[16:17], v11, v21
	s_or_b64 s[16:17], vcc, s[16:17]
	v_mov_b32_e32 v8, 0
	s_and_saveexec_b64 s[56:57], s[16:17]
	s_cbranch_execz .LBB0_278
; %bb.269:                              ;   in Loop: Header=BB0_267 Depth=2
	s_mov_b32 s76, 1
	s_mov_b64 s[60:61], 0
                                        ; implicit-def: $sgpr58_sgpr59
                                        ; implicit-def: $sgpr62_sgpr63
	s_branch .LBB0_271
.LBB0_270:                              ;   in Loop: Header=BB0_271 Depth=3
	s_or_b64 exec, exec, s[74:75]
	s_and_b64 s[16:17], exec, s[16:17]
	s_or_b64 s[60:61], s[16:17], s[60:61]
	s_andn2_b64 s[16:17], s[58:59], exec
	s_and_b64 s[58:59], s[62:63], exec
	s_or_b64 s[58:59], s[16:17], s[58:59]
	s_andn2_b64 exec, exec, s[60:61]
	s_cbranch_execz .LBB0_275
.LBB0_271:                              ;   Parent Loop BB0_50 Depth=1
                                        ;     Parent Loop BB0_267 Depth=2
                                        ; =>    This Inner Loop Header: Depth=3
	global_load_dwordx4 v[18:21], v[57:58], off glc slc
	s_add_i32 s76, s76, 1
	s_mov_b64 s[16:17], -1
	s_cmpk_lg_i32 s76, 0x2710
	s_mov_b64 s[72:73], -1
                                        ; implicit-def: $vgpr12
	s_cbranch_scc0 .LBB0_273
; %bb.272:                              ;   in Loop: Header=BB0_271 Depth=3
	s_or_b64 s[62:63], s[62:63], exec
	s_and_saveexec_b64 s[74:75], s[72:73]
	s_cbranch_execz .LBB0_270
	s_branch .LBB0_274
.LBB0_273:                              ;   in Loop: Header=BB0_271 Depth=3
	s_trap 2
	ds_read_b64 v[25:26], v0
	s_mov_b32 s76, 0
	s_waitcnt vmcnt(0) lgkmcnt(0)
	flat_load_dword v12, v[25:26] glc
	s_waitcnt vmcnt(0) lgkmcnt(0)
	buffer_wbinvl1_vol
	v_cmp_eq_u32_e32 vcc, 0, v12
	s_orn2_b64 s[72:73], vcc, exec
	s_or_b64 s[62:63], s[62:63], exec
	s_and_saveexec_b64 s[74:75], s[72:73]
	s_cbranch_execz .LBB0_270
.LBB0_274:                              ;   in Loop: Header=BB0_271 Depth=3
	s_waitcnt vmcnt(0)
	v_cmp_eq_u32_e32 vcc, v11, v19
	v_cmp_eq_u32_e64 s[16:17], v11, v21
	s_and_b64 s[16:17], vcc, s[16:17]
	s_andn2_b64 s[62:63], s[62:63], exec
	s_orn2_b64 s[16:17], s[16:17], exec
	s_branch .LBB0_270
.LBB0_275:                              ;   in Loop: Header=BB0_267 Depth=2
	s_or_b64 exec, exec, s[60:61]
	v_mov_b32_e32 v8, 0
	s_and_saveexec_b64 s[16:17], s[58:59]
	s_xor_b64 s[16:17], exec, s[16:17]
	s_cbranch_execz .LBB0_277
; %bb.276:                              ;   in Loop: Header=BB0_267 Depth=2
	v_mov_b32_e32 v8, 1
	ds_write_b32 v0, v12
	s_trap 2
.LBB0_277:                              ;   in Loop: Header=BB0_267 Depth=2
	s_or_b64 exec, exec, s[16:17]
.LBB0_278:                              ;   in Loop: Header=BB0_267 Depth=2
	s_or_b64 exec, exec, s[56:57]
.LBB0_279:                              ;   in Loop: Header=BB0_267 Depth=2
	s_or_b64 exec, exec, s[46:47]
	v_cmp_lt_u32_e32 vcc, 7, v7
	s_cmp_lg_u64 vcc, exec
	s_mov_b64 s[16:17], -1
	s_cbranch_scc0 .LBB0_289
; %bb.280:                              ;   in Loop: Header=BB0_267 Depth=2
	v_cmp_ne_u32_e64 s[16:17], 1, v7
	s_waitcnt vmcnt(0)
	flat_store_byte v[44:45], v18
	s_and_saveexec_b64 s[46:47], s[16:17]
	s_cbranch_execnz .LBB0_291
; %bb.281:                              ;   in Loop: Header=BB0_267 Depth=2
	s_or_b64 exec, exec, s[46:47]
	v_cmp_lt_u32_e64 s[16:17], 2, v7
	s_and_saveexec_b64 s[46:47], s[16:17]
	s_cbranch_execnz .LBB0_292
.LBB0_282:                              ;   in Loop: Header=BB0_267 Depth=2
	s_or_b64 exec, exec, s[46:47]
	v_cmp_lt_u32_e64 s[16:17], 3, v7
	s_and_saveexec_b64 s[46:47], s[16:17]
	s_cbranch_execnz .LBB0_293
.LBB0_283:                              ;   in Loop: Header=BB0_267 Depth=2
	s_or_b64 exec, exec, s[46:47]
	v_cmp_lt_u32_e64 s[16:17], 4, v7
	s_and_saveexec_b64 s[46:47], s[16:17]
	s_cbranch_execnz .LBB0_294
.LBB0_284:                              ;   in Loop: Header=BB0_267 Depth=2
	s_or_b64 exec, exec, s[46:47]
	v_cmp_lt_u32_e64 s[16:17], 5, v7
	s_and_saveexec_b64 s[46:47], s[16:17]
	s_cbranch_execnz .LBB0_295
.LBB0_285:                              ;   in Loop: Header=BB0_267 Depth=2
	s_or_b64 exec, exec, s[46:47]
	v_cmp_lt_u32_e64 s[16:17], 6, v7
	s_and_saveexec_b64 s[46:47], s[16:17]
	s_cbranch_execnz .LBB0_296
.LBB0_286:                              ;   in Loop: Header=BB0_267 Depth=2
	s_or_b64 exec, exec, s[46:47]
	s_and_saveexec_b64 s[16:17], vcc
	s_cbranch_execz .LBB0_288
.LBB0_287:                              ;   in Loop: Header=BB0_267 Depth=2
	v_lshrrev_b32_e32 v12, 24, v20
	flat_store_byte v[44:45], v12 offset:7
.LBB0_288:                              ;   in Loop: Header=BB0_267 Depth=2
	s_or_b64 exec, exec, s[16:17]
	s_mov_b64 s[16:17], 0
.LBB0_289:                              ;   in Loop: Header=BB0_267 Depth=2
	s_and_b64 vcc, exec, s[16:17]
	s_cbranch_vccz .LBB0_266
; %bb.290:                              ;   in Loop: Header=BB0_267 Depth=2
	s_waitcnt vmcnt(0)
	v_mov_b32_e32 v19, v20
	global_store_dwordx2 v[44:45], v[18:19], off
	s_branch .LBB0_266
.LBB0_291:                              ;   in Loop: Header=BB0_267 Depth=2
	v_lshrrev_b32_e32 v12, 8, v18
	flat_store_byte v[44:45], v12 offset:1
	s_or_b64 exec, exec, s[46:47]
	v_cmp_lt_u32_e64 s[16:17], 2, v7
	s_and_saveexec_b64 s[46:47], s[16:17]
	s_cbranch_execz .LBB0_282
.LBB0_292:                              ;   in Loop: Header=BB0_267 Depth=2
	flat_store_byte_d16_hi v[44:45], v18 offset:2
	s_or_b64 exec, exec, s[46:47]
	v_cmp_lt_u32_e64 s[16:17], 3, v7
	s_and_saveexec_b64 s[46:47], s[16:17]
	s_cbranch_execz .LBB0_283
.LBB0_293:                              ;   in Loop: Header=BB0_267 Depth=2
	v_lshrrev_b32_e32 v12, 24, v18
	flat_store_byte v[44:45], v12 offset:3
	s_or_b64 exec, exec, s[46:47]
	v_cmp_lt_u32_e64 s[16:17], 4, v7
	s_and_saveexec_b64 s[46:47], s[16:17]
	s_cbranch_execz .LBB0_284
.LBB0_294:                              ;   in Loop: Header=BB0_267 Depth=2
	flat_store_byte v[44:45], v20 offset:4
	s_or_b64 exec, exec, s[46:47]
	v_cmp_lt_u32_e64 s[16:17], 5, v7
	s_and_saveexec_b64 s[46:47], s[16:17]
	s_cbranch_execz .LBB0_285
.LBB0_295:                              ;   in Loop: Header=BB0_267 Depth=2
	v_lshrrev_b32_e32 v12, 8, v20
	flat_store_byte v[44:45], v12 offset:5
	s_or_b64 exec, exec, s[46:47]
	v_cmp_lt_u32_e64 s[16:17], 6, v7
	s_and_saveexec_b64 s[46:47], s[16:17]
	s_cbranch_execz .LBB0_286
.LBB0_296:                              ;   in Loop: Header=BB0_267 Depth=2
	flat_store_byte_d16_hi v[44:45], v20 offset:6
	s_or_b64 exec, exec, s[46:47]
	s_and_saveexec_b64 s[16:17], vcc
	s_cbranch_execnz .LBB0_287
	s_branch .LBB0_288
.LBB0_297:                              ;   in Loop: Header=BB0_50 Depth=1
	s_or_b64 exec, exec, s[44:45]
.LBB0_298:                              ;   in Loop: Header=BB0_50 Depth=1
	s_or_b64 exec, exec, s[18:19]
	s_and_saveexec_b64 s[16:17], s[10:11]
	s_cbranch_execnz .LBB0_300
; %bb.299:                              ;   in Loop: Header=BB0_50 Depth=1
	s_or_b64 exec, exec, s[16:17]
	s_and_saveexec_b64 s[16:17], s[14:15]
	s_cbranch_execz .LBB0_49
	s_branch .LBB0_318
.LBB0_300:                              ;   in Loop: Header=BB0_50 Depth=1
	s_and_saveexec_b64 s[18:19], s[28:29]
	s_xor_b64 s[18:19], exec, s[18:19]
	s_cbranch_execz .LBB0_315
; %bb.301:                              ;   in Loop: Header=BB0_50 Depth=1
	s_and_saveexec_b64 s[44:45], s[12:13]
	s_cbranch_execz .LBB0_314
; %bb.302:                              ;   in Loop: Header=BB0_50 Depth=1
	s_mov_b64 s[56:57], exec
	v_mbcnt_lo_u32_b32 v7, s56, 0
	v_mbcnt_hi_u32_b32 v7, s57, v7
	v_cmp_eq_u32_e32 vcc, 0, v7
	s_waitcnt vmcnt(0) lgkmcnt(0)
	buffer_wbinvl1_vol
	s_and_saveexec_b64 s[46:47], vcc
	s_cbranch_execz .LBB0_304
; %bb.303:                              ;   in Loop: Header=BB0_50 Depth=1
	s_bcnt1_i32_b64 s56, s[56:57]
	v_mov_b32_e32 v9, s56
	v_mov_b32_e32 v10, v17
	ds_add_u64 v0, v[9:10]
	s_trap 2
.LBB0_304:                              ;   in Loop: Header=BB0_50 Depth=1
	s_or_b64 exec, exec, s[46:47]
	s_trap 2
	ds_read_b64 v[9:10], v0
	s_waitcnt lgkmcnt(0)
	buffer_load_dword v7, off, s[0:3], s32 offset:68 ; 4-byte Folded Reload
	s_waitcnt vmcnt(0)
	v_add_co_u32_e32 v2, vcc, v2, v7
	v_addc_co_u32_e32 v3, vcc, 0, v3, vcc
	v_cmp_lt_u64_e32 vcc, v[9:10], v[2:3]
	s_and_saveexec_b64 s[46:47], vcc
	s_cbranch_execz .LBB0_313
; %bb.305:                              ;   in Loop: Header=BB0_50 Depth=1
	s_mov_b32 s76, 0
	s_mov_b64 s[56:57], 0
                                        ; implicit-def: $sgpr58_sgpr59
                                        ; implicit-def: $sgpr60_sgpr61
	s_branch .LBB0_307
.LBB0_306:                              ;   in Loop: Header=BB0_307 Depth=2
	s_or_b64 exec, exec, s[72:73]
	s_and_b64 s[62:63], exec, s[74:75]
	s_or_b64 s[56:57], s[62:63], s[56:57]
	s_andn2_b64 s[58:59], s[58:59], exec
	s_and_b64 s[62:63], s[60:61], exec
	s_or_b64 s[58:59], s[58:59], s[62:63]
	s_andn2_b64 exec, exec, s[56:57]
	s_cbranch_execz .LBB0_311
.LBB0_307:                              ;   Parent Loop BB0_50 Depth=1
                                        ; =>  This Inner Loop Header: Depth=2
	s_add_i32 s76, s76, 1
	s_cmpk_lg_i32 s76, 0x2710
	s_cselect_b64 s[62:63], -1, 0
	s_and_b64 vcc, exec, s[62:63]
	s_cbranch_vccz .LBB0_309
; %bb.308:                              ;   in Loop: Header=BB0_307 Depth=2
	s_mov_b64 s[74:75], -1
	s_or_b64 s[60:61], s[60:61], exec
	s_and_saveexec_b64 s[72:73], s[62:63]
	s_cbranch_execz .LBB0_306
	s_branch .LBB0_310
.LBB0_309:                              ;   in Loop: Header=BB0_307 Depth=2
	s_trap 2
	ds_read_b64 v[9:10], v0
	s_andn2_b64 s[62:63], s[62:63], exec
	s_mov_b32 s76, 0
	s_waitcnt lgkmcnt(0)
	flat_load_dword v7, v[9:10] glc
	s_waitcnt vmcnt(0) lgkmcnt(0)
	buffer_wbinvl1_vol
	v_cmp_eq_u32_e32 vcc, 0, v7
	s_and_b64 s[72:73], vcc, exec
	s_or_b64 s[62:63], s[62:63], s[72:73]
	s_mov_b64 s[74:75], -1
	s_or_b64 s[60:61], s[60:61], exec
	s_and_saveexec_b64 s[72:73], s[62:63]
	s_cbranch_execz .LBB0_306
.LBB0_310:                              ;   in Loop: Header=BB0_307 Depth=2
	s_sleep 1
	s_trap 2
	ds_read_b64 v[9:10], v0
	s_waitcnt lgkmcnt(0)
	s_andn2_b64 s[60:61], s[60:61], exec
	v_cmp_ge_u64_e32 vcc, v[9:10], v[2:3]
	s_orn2_b64 s[74:75], vcc, exec
	s_branch .LBB0_306
.LBB0_311:                              ;   in Loop: Header=BB0_50 Depth=1
	s_or_b64 exec, exec, s[56:57]
	s_and_saveexec_b64 s[56:57], s[58:59]
	s_xor_b64 s[56:57], exec, s[56:57]
	s_cbranch_execz .LBB0_313
; %bb.312:                              ;   in Loop: Header=BB0_50 Depth=1
	v_mov_b32_e32 v7, 1
	ds_write_b32 v0, v7
	s_trap 2
.LBB0_313:                              ;   in Loop: Header=BB0_50 Depth=1
	s_or_b64 exec, exec, s[46:47]
	;;#ASMSTART
	s_wakeup
	;;#ASMEND
.LBB0_314:                              ;   in Loop: Header=BB0_50 Depth=1
	s_or_b64 exec, exec, s[44:45]
.LBB0_315:                              ;   in Loop: Header=BB0_50 Depth=1
	s_andn2_saveexec_b64 s[18:19], s[18:19]
	s_cbranch_execz .LBB0_317
; %bb.316:                              ;   in Loop: Header=BB0_50 Depth=1
	s_waitcnt vmcnt(0) lgkmcnt(0)
	buffer_wbinvl1_vol
	s_barrier
.LBB0_317:                              ;   in Loop: Header=BB0_50 Depth=1
	s_or_b64 exec, exec, s[18:19]
	s_or_b64 exec, exec, s[16:17]
	s_and_saveexec_b64 s[16:17], s[14:15]
	s_cbranch_execz .LBB0_49
.LBB0_318:                              ;   in Loop: Header=BB0_50 Depth=1
	v_add_co_u32_e32 v38, vcc, 1, v38
	v_addc_co_u32_e32 v39, vcc, 0, v39, vcc
	flat_store_dwordx2 v[48:49], v[38:39]
	s_branch .LBB0_49
.LBB0_319:
	s_or_b64 exec, exec, s[26:27]
	buffer_load_dword v31, off, s[0:3], s32 offset:164 ; 4-byte Folded Reload
	buffer_load_dword v10, off, s[0:3], s32 offset:168 ; 4-byte Folded Reload
	;; [unrolled: 1-line block ×5, first 2 shown]
	s_or_b64 exec, exec, s[24:25]
	s_and_saveexec_b64 s[6:7], s[22:23]
	s_cbranch_execz .LBB0_46
.LBB0_320:
	s_waitcnt vmcnt(0) lgkmcnt(0)
	flat_store_dwordx2 v[20:21], v[38:39] offset:104
	s_or_b64 exec, exec, s[6:7]
	s_and_saveexec_b64 s[6:7], s[4:5]
	s_cbranch_execz .LBB0_47
.LBB0_321:
	s_waitcnt vmcnt(0) lgkmcnt(0)
	flat_store_dwordx2 v[10:11], v[15:16] offset:104
	s_or_b64 exec, exec, s[6:7]
	v_cmp_ne_u32_e32 vcc, 64, v1
	s_and_saveexec_b64 s[4:5], vcc
	s_cbranch_execz .LBB0_339
.LBB0_322:
	buffer_load_dword v0, off, s[0:3], s32 offset:160 ; 4-byte Folded Reload
	s_waitcnt vmcnt(0)
	v_cmp_ne_u32_sdwa s[6:7], v1, v0 src0_sel:DWORD src1_sel:WORD_0
	s_and_saveexec_b64 s[8:9], s[6:7]
	s_xor_b64 s[6:7], exec, s[8:9]
	s_cbranch_execz .LBB0_337
; %bb.323:
	v_and_b32_e32 v0, 63, v31
	v_cmp_eq_u32_e32 vcc, 0, v0
	s_and_saveexec_b64 s[8:9], vcc
	s_cbranch_execz .LBB0_336
; %bb.324:
	s_mov_b64 s[12:13], exec
	v_mbcnt_lo_u32_b32 v0, s12, 0
	v_mbcnt_hi_u32_b32 v0, s13, v0
	v_cmp_eq_u32_e32 vcc, 0, v0
	s_waitcnt lgkmcnt(0)
	buffer_wbinvl1_vol
	s_and_saveexec_b64 s[10:11], vcc
	s_cbranch_execz .LBB0_326
; %bb.325:
	s_bcnt1_i32_b64 s12, s[12:13]
	v_mov_b32_e32 v4, s12
	v_mov_b32_e32 v5, 0
	ds_add_u64 v0, v[4:5]
	s_trap 2
.LBB0_326:
	s_or_b64 exec, exec, s[10:11]
	v_lshrrev_b32_e32 v0, 6, v1
	s_trap 2
	ds_read_b64 v[4:5], v0
	s_waitcnt lgkmcnt(0)
	v_add_co_u32_e32 v0, vcc, v2, v0
	v_addc_co_u32_e32 v1, vcc, 0, v3, vcc
	v_cmp_lt_u64_e32 vcc, v[4:5], v[0:1]
	s_and_saveexec_b64 s[10:11], vcc
	s_cbranch_execz .LBB0_335
; %bb.327:
	s_mov_b32 s26, 0
	s_mov_b64 s[12:13], 0
                                        ; implicit-def: $sgpr14_sgpr15
                                        ; implicit-def: $sgpr16_sgpr17
	s_branch .LBB0_329
.LBB0_328:                              ;   in Loop: Header=BB0_329 Depth=1
	s_or_b64 exec, exec, s[22:23]
	s_and_b64 s[18:19], exec, s[24:25]
	s_or_b64 s[12:13], s[18:19], s[12:13]
	s_andn2_b64 s[14:15], s[14:15], exec
	s_and_b64 s[18:19], s[16:17], exec
	s_or_b64 s[14:15], s[14:15], s[18:19]
	s_andn2_b64 exec, exec, s[12:13]
	s_cbranch_execz .LBB0_333
.LBB0_329:                              ; =>This Inner Loop Header: Depth=1
	s_add_i32 s26, s26, 1
	s_cmpk_lg_i32 s26, 0x2710
	s_cselect_b64 s[18:19], -1, 0
	s_and_b64 vcc, exec, s[18:19]
	s_cbranch_vccz .LBB0_331
; %bb.330:                              ;   in Loop: Header=BB0_329 Depth=1
	s_mov_b64 s[24:25], -1
	s_or_b64 s[16:17], s[16:17], exec
	s_and_saveexec_b64 s[22:23], s[18:19]
	s_cbranch_execz .LBB0_328
	s_branch .LBB0_332
.LBB0_331:                              ;   in Loop: Header=BB0_329 Depth=1
	s_trap 2
	ds_read_b64 v[2:3], v0
	s_andn2_b64 s[18:19], s[18:19], exec
	s_mov_b32 s26, 0
	s_waitcnt lgkmcnt(0)
	flat_load_dword v2, v[2:3] glc
	s_waitcnt vmcnt(0) lgkmcnt(0)
	buffer_wbinvl1_vol
	v_cmp_eq_u32_e32 vcc, 0, v2
	s_and_b64 s[22:23], vcc, exec
	s_or_b64 s[18:19], s[18:19], s[22:23]
	s_mov_b64 s[24:25], -1
	s_or_b64 s[16:17], s[16:17], exec
	s_and_saveexec_b64 s[22:23], s[18:19]
	s_cbranch_execz .LBB0_328
.LBB0_332:                              ;   in Loop: Header=BB0_329 Depth=1
	s_sleep 1
	s_trap 2
	ds_read_b64 v[2:3], v0
	s_waitcnt lgkmcnt(0)
	s_andn2_b64 s[16:17], s[16:17], exec
	v_cmp_ge_u64_e32 vcc, v[2:3], v[0:1]
	s_orn2_b64 s[24:25], vcc, exec
	s_branch .LBB0_328
.LBB0_333:
	s_or_b64 exec, exec, s[12:13]
	s_and_saveexec_b64 s[12:13], s[14:15]
	s_xor_b64 s[12:13], exec, s[12:13]
	s_cbranch_execz .LBB0_335
; %bb.334:
	v_mov_b32_e32 v0, 1
	ds_write_b32 v0, v0
	s_trap 2
.LBB0_335:
	s_or_b64 exec, exec, s[10:11]
	;;#ASMSTART
	s_wakeup
	;;#ASMEND
.LBB0_336:
	s_or_b64 exec, exec, s[8:9]
.LBB0_337:
	s_andn2_saveexec_b64 s[6:7], s[6:7]
	s_cbranch_execz .LBB0_339
; %bb.338:
	s_waitcnt lgkmcnt(0)
	buffer_wbinvl1_vol
	s_barrier
.LBB0_339:
	s_or_b64 exec, exec, s[4:5]
.LBB0_340:
	s_or_b64 exec, exec, s[20:21]
	buffer_load_dword v63, off, s[0:3], s32 ; 4-byte Folded Reload
	buffer_load_dword v62, off, s[0:3], s32 offset:4 ; 4-byte Folded Reload
	buffer_load_dword v61, off, s[0:3], s32 offset:8 ; 4-byte Folded Reload
	buffer_load_dword v60, off, s[0:3], s32 offset:12 ; 4-byte Folded Reload
	buffer_load_dword v59, off, s[0:3], s32 offset:16 ; 4-byte Folded Reload
	buffer_load_dword v58, off, s[0:3], s32 offset:20 ; 4-byte Folded Reload
	buffer_load_dword v57, off, s[0:3], s32 offset:24 ; 4-byte Folded Reload
	buffer_load_dword v56, off, s[0:3], s32 offset:28 ; 4-byte Folded Reload
	s_waitcnt lgkmcnt(0)
	buffer_load_dword v47, off, s[0:3], s32 offset:32 ; 4-byte Folded Reload
	buffer_load_dword v46, off, s[0:3], s32 offset:36 ; 4-byte Folded Reload
	;; [unrolled: 1-line block ×8, first 2 shown]
	s_waitcnt vmcnt(0)
	s_setpc_b64 s[30:31]
.Lfunc_end0:
	.size	_ZN12_GLOBAL__N_17runRingIa7FuncSumIaE7ProtoLLLi0ELi1ELi0ELb0EEEviiP15ncclDevWorkColl, .Lfunc_end0-_ZN12_GLOBAL__N_17runRingIa7FuncSumIaE7ProtoLLLi0ELi1ELi0ELb0EEEviiP15ncclDevWorkColl
                                        ; -- End function
	.set .L_ZN12_GLOBAL__N_17runRingIa7FuncSumIaE7ProtoLLLi0ELi1ELi0ELb0EEEviiP15ncclDevWorkColl.num_vgpr, 64
	.set .L_ZN12_GLOBAL__N_17runRingIa7FuncSumIaE7ProtoLLLi0ELi1ELi0ELb0EEEviiP15ncclDevWorkColl.num_agpr, 0
	.set .L_ZN12_GLOBAL__N_17runRingIa7FuncSumIaE7ProtoLLLi0ELi1ELi0ELb0EEEviiP15ncclDevWorkColl.numbered_sgpr, 94
	.set .L_ZN12_GLOBAL__N_17runRingIa7FuncSumIaE7ProtoLLLi0ELi1ELi0ELb0EEEviiP15ncclDevWorkColl.num_named_barrier, 0
	.set .L_ZN12_GLOBAL__N_17runRingIa7FuncSumIaE7ProtoLLLi0ELi1ELi0ELb0EEEviiP15ncclDevWorkColl.private_seg_size, 188
	.set .L_ZN12_GLOBAL__N_17runRingIa7FuncSumIaE7ProtoLLLi0ELi1ELi0ELb0EEEviiP15ncclDevWorkColl.uses_vcc, 1
	.set .L_ZN12_GLOBAL__N_17runRingIa7FuncSumIaE7ProtoLLLi0ELi1ELi0ELb0EEEviiP15ncclDevWorkColl.uses_flat_scratch, 0
	.set .L_ZN12_GLOBAL__N_17runRingIa7FuncSumIaE7ProtoLLLi0ELi1ELi0ELb0EEEviiP15ncclDevWorkColl.has_dyn_sized_stack, 0
	.set .L_ZN12_GLOBAL__N_17runRingIa7FuncSumIaE7ProtoLLLi0ELi1ELi0ELb0EEEviiP15ncclDevWorkColl.has_recursion, 0
	.set .L_ZN12_GLOBAL__N_17runRingIa7FuncSumIaE7ProtoLLLi0ELi1ELi0ELb0EEEviiP15ncclDevWorkColl.has_indirect_call, 0
	.section	.AMDGPU.csdata,"",@progbits
; Function info:
; codeLenInByte = 10832
; TotalNumSgprs: 98
; NumVgprs: 64
; ScratchSize: 188
; MemoryBound: 0
	.text
	.p2align	2                               ; -- Begin function _Z42ncclDevFunc_AllGather_RING_LL_Sum_i8_0_0_1v
	.type	_Z42ncclDevFunc_AllGather_RING_LL_Sum_i8_0_0_1v,@function
_Z42ncclDevFunc_AllGather_RING_LL_Sum_i8_0_0_1v: ; @_Z42ncclDevFunc_AllGather_RING_LL_Sum_i8_0_0_1v
; %bb.0:
	s_waitcnt vmcnt(0) expcnt(0) lgkmcnt(0)
	s_mov_b32 s4, s33
	s_mov_b32 s33, s32
	s_or_saveexec_b64 s[6:7], -1
	buffer_store_dword v43, off, s[0:3], s33 offset:12 ; 4-byte Folded Spill
	s_mov_b64 exec, s[6:7]
	v_writelane_b32 v43, s4, 6
	s_addk_i32 s32, 0x800
	buffer_store_dword v40, off, s[0:3], s33 offset:8 ; 4-byte Folded Spill
	buffer_store_dword v41, off, s[0:3], s33 offset:4 ; 4-byte Folded Spill
	buffer_store_dword v42, off, s[0:3], s33 ; 4-byte Folded Spill
	v_writelane_b32 v43, s34, 0
	v_writelane_b32 v43, s35, 1
	;; [unrolled: 1-line block ×6, first 2 shown]
	s_trap 2
	ds_read_b32 v0, v0
	v_mov_b32_e32 v40, v31
	s_mov_b32 s34, s12
	s_waitcnt lgkmcnt(0)
	v_cmp_gt_i32_e32 vcc, 1, v0
	s_cbranch_vccnz .LBB1_8
; %bb.1:
	s_mov_b64 s[94:95], s[8:9]
	s_mov_b32 s35, 0
	v_and_b32_e32 v41, 0x3ff, v40
	v_mov_b32_e32 v42, 6
	s_branch .LBB1_3
.LBB1_2:                                ;   in Loop: Header=BB1_3 Depth=1
	s_or_b64 exec, exec, s[36:37]
	s_trap 2
	ds_read_b32 v0, v0
	s_add_i32 s35, s35, 1
	s_waitcnt lgkmcnt(0)
	v_cmp_lt_i32_e32 vcc, s35, v0
	s_cbranch_vccz .LBB1_8
.LBB1_3:                                ; =>This Inner Loop Header: Depth=1
	s_trap 2
	ds_read_b32 v0, v0
	s_cmp_eq_u32 s35, 0
	s_cbranch_scc1 .LBB1_6
; %bb.4:                                ;   in Loop: Header=BB1_3 Depth=1
	s_trap 2
	s_waitcnt lgkmcnt(0)
	ds_read_b32 v1, v0
	s_waitcnt lgkmcnt(0)
	v_xor_b32_e32 v1, v1, v0
	v_and_b32_e32 v1, 0xff0000, v1
	v_cmp_eq_u32_e32 vcc, 0, v1
	s_cbranch_vccnz .LBB1_6
; %bb.5:                                ;   in Loop: Header=BB1_3 Depth=1
	s_waitcnt vmcnt(0)
	s_barrier
	ds_read_b32 v0, v0
.LBB1_6:                                ;   in Loop: Header=BB1_3 Depth=1
	s_waitcnt lgkmcnt(0)
	v_lshlrev_b32_sdwa v1, v42, v0 dst_sel:DWORD dst_unused:UNUSED_PAD src0_sel:DWORD src1_sel:BYTE_2
	v_cmp_lt_u32_e32 vcc, v41, v1
	s_and_saveexec_b64 s[36:37], vcc
	s_cbranch_execz .LBB1_2
; %bb.7:                                ;   in Loop: Header=BB1_3 Depth=1
	s_mov_b64 s[4:5], src_shared_base
	s_getpc_b64 s[6:7]
	s_add_u32 s6, s6, _ZN12_GLOBAL__N_17runRingIa7FuncSumIaE7ProtoLLLi0ELi1ELi0ELb0EEEviiP15ncclDevWorkColl@rel32@lo+4
	s_addc_u32 s7, s7, _ZN12_GLOBAL__N_17runRingIa7FuncSumIaE7ProtoLLLi0ELi1ELi0ELb0EEEviiP15ncclDevWorkColl@rel32@hi+12
	s_mov_b64 s[8:9], s[94:95]
	s_mov_b32 s12, s34
	v_mov_b32_e32 v31, v40
	v_mov_b32_e32 v0, v41
	;; [unrolled: 1-line block ×3, first 2 shown]
	s_swappc_b64 s[30:31], s[6:7]
	s_branch .LBB1_2
.LBB1_8:
	buffer_load_dword v42, off, s[0:3], s33 ; 4-byte Folded Reload
	buffer_load_dword v41, off, s[0:3], s33 offset:4 ; 4-byte Folded Reload
	buffer_load_dword v40, off, s[0:3], s33 offset:8 ; 4-byte Folded Reload
	v_readlane_b32 s30, v43, 4
	v_readlane_b32 s31, v43, 5
	;; [unrolled: 1-line block ×6, first 2 shown]
	s_mov_b32 s32, s33
	v_readlane_b32 s4, v43, 6
	s_or_saveexec_b64 s[6:7], -1
	buffer_load_dword v43, off, s[0:3], s33 offset:12 ; 4-byte Folded Reload
	s_mov_b64 exec, s[6:7]
	s_mov_b32 s33, s4
	s_waitcnt vmcnt(0)
	s_setpc_b64 s[30:31]
.Lfunc_end1:
	.size	_Z42ncclDevFunc_AllGather_RING_LL_Sum_i8_0_0_1v, .Lfunc_end1-_Z42ncclDevFunc_AllGather_RING_LL_Sum_i8_0_0_1v
                                        ; -- End function
	.set .L_Z42ncclDevFunc_AllGather_RING_LL_Sum_i8_0_0_1v.num_vgpr, max(44, .L_ZN12_GLOBAL__N_17runRingIa7FuncSumIaE7ProtoLLLi0ELi1ELi0ELb0EEEviiP15ncclDevWorkColl.num_vgpr)
	.set .L_Z42ncclDevFunc_AllGather_RING_LL_Sum_i8_0_0_1v.num_agpr, max(0, .L_ZN12_GLOBAL__N_17runRingIa7FuncSumIaE7ProtoLLLi0ELi1ELi0ELb0EEEviiP15ncclDevWorkColl.num_agpr)
	.set .L_Z42ncclDevFunc_AllGather_RING_LL_Sum_i8_0_0_1v.numbered_sgpr, max(96, .L_ZN12_GLOBAL__N_17runRingIa7FuncSumIaE7ProtoLLLi0ELi1ELi0ELb0EEEviiP15ncclDevWorkColl.numbered_sgpr)
	.set .L_Z42ncclDevFunc_AllGather_RING_LL_Sum_i8_0_0_1v.num_named_barrier, max(0, .L_ZN12_GLOBAL__N_17runRingIa7FuncSumIaE7ProtoLLLi0ELi1ELi0ELb0EEEviiP15ncclDevWorkColl.num_named_barrier)
	.set .L_Z42ncclDevFunc_AllGather_RING_LL_Sum_i8_0_0_1v.private_seg_size, 32+max(.L_ZN12_GLOBAL__N_17runRingIa7FuncSumIaE7ProtoLLLi0ELi1ELi0ELb0EEEviiP15ncclDevWorkColl.private_seg_size)
	.set .L_Z42ncclDevFunc_AllGather_RING_LL_Sum_i8_0_0_1v.uses_vcc, or(1, .L_ZN12_GLOBAL__N_17runRingIa7FuncSumIaE7ProtoLLLi0ELi1ELi0ELb0EEEviiP15ncclDevWorkColl.uses_vcc)
	.set .L_Z42ncclDevFunc_AllGather_RING_LL_Sum_i8_0_0_1v.uses_flat_scratch, or(0, .L_ZN12_GLOBAL__N_17runRingIa7FuncSumIaE7ProtoLLLi0ELi1ELi0ELb0EEEviiP15ncclDevWorkColl.uses_flat_scratch)
	.set .L_Z42ncclDevFunc_AllGather_RING_LL_Sum_i8_0_0_1v.has_dyn_sized_stack, or(0, .L_ZN12_GLOBAL__N_17runRingIa7FuncSumIaE7ProtoLLLi0ELi1ELi0ELb0EEEviiP15ncclDevWorkColl.has_dyn_sized_stack)
	.set .L_Z42ncclDevFunc_AllGather_RING_LL_Sum_i8_0_0_1v.has_recursion, or(1, .L_ZN12_GLOBAL__N_17runRingIa7FuncSumIaE7ProtoLLLi0ELi1ELi0ELb0EEEviiP15ncclDevWorkColl.has_recursion)
	.set .L_Z42ncclDevFunc_AllGather_RING_LL_Sum_i8_0_0_1v.has_indirect_call, or(0, .L_ZN12_GLOBAL__N_17runRingIa7FuncSumIaE7ProtoLLLi0ELi1ELi0ELb0EEEviiP15ncclDevWorkColl.has_indirect_call)
	.section	.AMDGPU.csdata,"",@progbits
; Function info:
; codeLenInByte = 464
; TotalNumSgprs: 100
; NumVgprs: 64
; ScratchSize: 220
; MemoryBound: 0
	.text
	.p2align	2                               ; -- Begin function __ockl_fprintf_append_string_n
	.type	__ockl_fprintf_append_string_n,@function
__ockl_fprintf_append_string_n:         ; @__ockl_fprintf_append_string_n
; %bb.0:
	s_waitcnt vmcnt(0) expcnt(0) lgkmcnt(0)
	v_or_b32_e32 v2, 2, v0
	v_cmp_eq_u32_e32 vcc, 0, v6
	s_getpc_b64 s[4:5]
	s_add_u32 s4, s4, .str.4@rel32@lo+4
	s_addc_u32 s5, s5, .str.4@rel32@hi+12
	s_mov_b32 s20, 0
	v_cndmask_b32_e32 v36, v2, v0, vcc
	s_mov_b64 s[6:7], 0
	s_cmp_lg_u64 s[4:5], 0
	v_mbcnt_lo_u32_b32 v37, -1, 0
	s_cbranch_scc0 .LBB2_112
; %bb.1:
	s_load_dwordx2 s[10:11], s[8:9], 0x50
	s_getpc_b64 s[4:5]
	s_add_u32 s4, s4, .str.4@rel32@lo+4
	s_addc_u32 s5, s5, .str.4@rel32@hi+12
	v_and_b32_e32 v0, -3, v36
	v_mov_b32_e32 v31, s5
	v_mov_b32_e32 v11, v1
	v_and_b32_e32 v38, 2, v36
	v_mov_b32_e32 v3, 0
	v_mbcnt_hi_u32_b32 v39, -1, v37
	v_mov_b32_e32 v30, s4
	s_movk_i32 s21, 0x1e0
	v_mov_b32_e32 v8, 2
	v_mov_b32_e32 v9, 1
	;; [unrolled: 1-line block ×3, first 2 shown]
	s_branch .LBB2_3
.LBB2_2:                                ;   in Loop: Header=BB2_3 Depth=1
	s_or_b64 exec, exec, s[14:15]
	v_sub_co_u32_e32 v4, vcc, v4, v32
	v_subb_co_u32_e32 v5, vcc, v5, v33, vcc
	v_cmp_eq_u64_e32 vcc, 0, v[4:5]
	s_or_b64 s[6:7], vcc, s[6:7]
	v_add_co_u32_e32 v30, vcc, v30, v32
	v_addc_co_u32_e32 v31, vcc, v31, v33, vcc
	s_andn2_b64 exec, exec, s[6:7]
	s_cbranch_execz .LBB2_85
.LBB2_3:                                ; =>This Loop Header: Depth=1
                                        ;     Child Loop BB2_6 Depth 2
                                        ;     Child Loop BB2_14 Depth 2
	;; [unrolled: 1-line block ×11, first 2 shown]
	v_cmp_gt_u64_e32 vcc, 56, v[4:5]
	v_add_co_u32_e64 v16, s[4:5], 8, v30
	v_cndmask_b32_e32 v33, 0, v5, vcc
	v_cndmask_b32_e32 v32, 56, v4, vcc
	v_cmp_gt_u64_e32 vcc, 8, v[4:5]
	v_addc_co_u32_e64 v17, s[4:5], 0, v31, s[4:5]
	s_and_saveexec_b64 s[4:5], vcc
	s_xor_b64 s[4:5], exec, s[4:5]
	s_cbranch_execz .LBB2_9
; %bb.4:                                ;   in Loop: Header=BB2_3 Depth=1
	s_waitcnt vmcnt(0)
	v_mov_b32_e32 v12, 0
	v_cmp_ne_u64_e32 vcc, 0, v[4:5]
	v_mov_b32_e32 v13, 0
	s_and_saveexec_b64 s[12:13], vcc
	s_cbranch_execz .LBB2_8
; %bb.5:                                ;   in Loop: Header=BB2_3 Depth=1
	v_lshlrev_b64 v[6:7], 3, v[32:33]
	v_mov_b32_e32 v12, 0
	v_mov_b32_e32 v14, v30
	s_mov_b64 s[14:15], 0
	v_mov_b32_e32 v13, 0
	v_mov_b32_e32 v15, v31
	s_mov_b64 s[16:17], 0
.LBB2_6:                                ;   Parent Loop BB2_3 Depth=1
                                        ; =>  This Inner Loop Header: Depth=2
	global_load_ubyte v0, v[14:15], off
	v_mov_b32_e32 v17, s20
	v_add_co_u32_e32 v14, vcc, 1, v14
	v_addc_co_u32_e32 v15, vcc, 0, v15, vcc
	s_waitcnt vmcnt(0)
	v_and_b32_e32 v16, 0xffff, v0
	v_lshlrev_b64 v[16:17], s16, v[16:17]
	s_add_u32 s16, s16, 8
	s_addc_u32 s17, s17, 0
	v_cmp_eq_u32_e32 vcc, s16, v6
	v_or_b32_e32 v13, v17, v13
	s_or_b64 s[14:15], vcc, s[14:15]
	v_or_b32_e32 v12, v16, v12
	s_andn2_b64 exec, exec, s[14:15]
	s_cbranch_execnz .LBB2_6
; %bb.7:                                ;   in Loop: Header=BB2_3 Depth=1
	s_or_b64 exec, exec, s[14:15]
.LBB2_8:                                ;   in Loop: Header=BB2_3 Depth=1
	s_or_b64 exec, exec, s[12:13]
	v_mov_b32_e32 v16, v30
	v_mov_b32_e32 v17, v31
.LBB2_9:                                ;   in Loop: Header=BB2_3 Depth=1
	s_or_saveexec_b64 s[4:5], s[4:5]
	v_mov_b32_e32 v0, 0
	s_xor_b64 exec, exec, s[4:5]
	s_cbranch_execz .LBB2_11
; %bb.10:                               ;   in Loop: Header=BB2_3 Depth=1
	global_load_dwordx2 v[12:13], v[30:31], off
	v_add_u32_e32 v0, -8, v32
.LBB2_11:                               ;   in Loop: Header=BB2_3 Depth=1
	s_or_b64 exec, exec, s[4:5]
	v_add_co_u32_e64 v6, s[4:5], 8, v16
	v_cmp_gt_u32_e32 vcc, 8, v0
	v_addc_co_u32_e64 v7, s[4:5], 0, v17, s[4:5]
                                        ; implicit-def: $vgpr14_vgpr15
	s_and_saveexec_b64 s[4:5], vcc
	s_xor_b64 s[4:5], exec, s[4:5]
	s_cbranch_execz .LBB2_17
; %bb.12:                               ;   in Loop: Header=BB2_3 Depth=1
	v_mov_b32_e32 v14, 0
	v_mov_b32_e32 v15, 0
	v_cmp_ne_u32_e32 vcc, 0, v0
	s_and_saveexec_b64 s[12:13], vcc
	s_cbranch_execz .LBB2_16
; %bb.13:                               ;   in Loop: Header=BB2_3 Depth=1
	v_mov_b32_e32 v14, 0
	s_mov_b64 s[14:15], 0
	v_mov_b32_e32 v15, 0
	s_mov_b64 s[16:17], 0
	s_mov_b64 s[18:19], 0
.LBB2_14:                               ;   Parent Loop BB2_3 Depth=1
                                        ; =>  This Inner Loop Header: Depth=2
	v_mov_b32_e32 v2, s19
	v_add_co_u32_e32 v6, vcc, s18, v16
	v_addc_co_u32_e32 v7, vcc, v17, v2, vcc
	global_load_ubyte v2, v[6:7], off
	s_add_u32 s18, s18, 1
	v_mov_b32_e32 v7, s20
	s_addc_u32 s19, s19, 0
	v_cmp_eq_u32_e32 vcc, s18, v0
	s_waitcnt vmcnt(0)
	v_and_b32_e32 v6, 0xffff, v2
	v_lshlrev_b64 v[6:7], s16, v[6:7]
	s_add_u32 s16, s16, 8
	s_addc_u32 s17, s17, 0
	v_or_b32_e32 v15, v7, v15
	s_or_b64 s[14:15], vcc, s[14:15]
	v_or_b32_e32 v14, v6, v14
	s_andn2_b64 exec, exec, s[14:15]
	s_cbranch_execnz .LBB2_14
; %bb.15:                               ;   in Loop: Header=BB2_3 Depth=1
	s_or_b64 exec, exec, s[14:15]
.LBB2_16:                               ;   in Loop: Header=BB2_3 Depth=1
	s_or_b64 exec, exec, s[12:13]
	v_mov_b32_e32 v6, v16
	v_mov_b32_e32 v7, v17
                                        ; implicit-def: $vgpr0
.LBB2_17:                               ;   in Loop: Header=BB2_3 Depth=1
	s_or_saveexec_b64 s[4:5], s[4:5]
	v_mov_b32_e32 v2, 0
	s_xor_b64 exec, exec, s[4:5]
	s_cbranch_execz .LBB2_19
; %bb.18:                               ;   in Loop: Header=BB2_3 Depth=1
	global_load_dwordx2 v[14:15], v[16:17], off
	v_add_u32_e32 v2, -8, v0
.LBB2_19:                               ;   in Loop: Header=BB2_3 Depth=1
	s_or_b64 exec, exec, s[4:5]
	v_add_co_u32_e64 v20, s[4:5], 8, v6
	v_cmp_gt_u32_e32 vcc, 8, v2
	v_addc_co_u32_e64 v21, s[4:5], 0, v7, s[4:5]
	s_and_saveexec_b64 s[4:5], vcc
	s_xor_b64 s[4:5], exec, s[4:5]
	s_cbranch_execz .LBB2_25
; %bb.20:                               ;   in Loop: Header=BB2_3 Depth=1
	v_mov_b32_e32 v16, 0
	v_mov_b32_e32 v17, 0
	v_cmp_ne_u32_e32 vcc, 0, v2
	s_and_saveexec_b64 s[12:13], vcc
	s_cbranch_execz .LBB2_24
; %bb.21:                               ;   in Loop: Header=BB2_3 Depth=1
	v_mov_b32_e32 v16, 0
	s_mov_b64 s[14:15], 0
	v_mov_b32_e32 v17, 0
	s_mov_b64 s[16:17], 0
	s_mov_b64 s[18:19], 0
.LBB2_22:                               ;   Parent Loop BB2_3 Depth=1
                                        ; =>  This Inner Loop Header: Depth=2
	v_mov_b32_e32 v0, s19
	v_add_co_u32_e32 v18, vcc, s18, v6
	v_addc_co_u32_e32 v19, vcc, v7, v0, vcc
	global_load_ubyte v0, v[18:19], off
	s_add_u32 s18, s18, 1
	v_mov_b32_e32 v19, s20
	s_addc_u32 s19, s19, 0
	v_cmp_eq_u32_e32 vcc, s18, v2
	s_waitcnt vmcnt(0)
	v_and_b32_e32 v18, 0xffff, v0
	v_lshlrev_b64 v[18:19], s16, v[18:19]
	s_add_u32 s16, s16, 8
	s_addc_u32 s17, s17, 0
	v_or_b32_e32 v17, v19, v17
	s_or_b64 s[14:15], vcc, s[14:15]
	v_or_b32_e32 v16, v18, v16
	s_andn2_b64 exec, exec, s[14:15]
	s_cbranch_execnz .LBB2_22
; %bb.23:                               ;   in Loop: Header=BB2_3 Depth=1
	s_or_b64 exec, exec, s[14:15]
.LBB2_24:                               ;   in Loop: Header=BB2_3 Depth=1
	s_or_b64 exec, exec, s[12:13]
	v_mov_b32_e32 v21, v7
	v_mov_b32_e32 v20, v6
                                        ; implicit-def: $vgpr2
.LBB2_25:                               ;   in Loop: Header=BB2_3 Depth=1
	s_or_saveexec_b64 s[4:5], s[4:5]
	v_mov_b32_e32 v0, 0
	s_xor_b64 exec, exec, s[4:5]
	s_cbranch_execz .LBB2_27
; %bb.26:                               ;   in Loop: Header=BB2_3 Depth=1
	global_load_dwordx2 v[16:17], v[6:7], off
	v_add_u32_e32 v0, -8, v2
.LBB2_27:                               ;   in Loop: Header=BB2_3 Depth=1
	s_or_b64 exec, exec, s[4:5]
	v_add_co_u32_e64 v6, s[4:5], 8, v20
	v_cmp_gt_u32_e32 vcc, 8, v0
	v_addc_co_u32_e64 v7, s[4:5], 0, v21, s[4:5]
                                        ; implicit-def: $vgpr18_vgpr19
	s_and_saveexec_b64 s[4:5], vcc
	s_xor_b64 s[4:5], exec, s[4:5]
	s_cbranch_execz .LBB2_33
; %bb.28:                               ;   in Loop: Header=BB2_3 Depth=1
	v_mov_b32_e32 v18, 0
	v_mov_b32_e32 v19, 0
	v_cmp_ne_u32_e32 vcc, 0, v0
	s_and_saveexec_b64 s[12:13], vcc
	s_cbranch_execz .LBB2_32
; %bb.29:                               ;   in Loop: Header=BB2_3 Depth=1
	v_mov_b32_e32 v18, 0
	s_mov_b64 s[14:15], 0
	v_mov_b32_e32 v19, 0
	s_mov_b64 s[16:17], 0
	s_mov_b64 s[18:19], 0
.LBB2_30:                               ;   Parent Loop BB2_3 Depth=1
                                        ; =>  This Inner Loop Header: Depth=2
	v_mov_b32_e32 v2, s19
	v_add_co_u32_e32 v6, vcc, s18, v20
	v_addc_co_u32_e32 v7, vcc, v21, v2, vcc
	global_load_ubyte v2, v[6:7], off
	s_add_u32 s18, s18, 1
	v_mov_b32_e32 v7, s20
	s_addc_u32 s19, s19, 0
	v_cmp_eq_u32_e32 vcc, s18, v0
	s_waitcnt vmcnt(0)
	v_and_b32_e32 v6, 0xffff, v2
	v_lshlrev_b64 v[6:7], s16, v[6:7]
	s_add_u32 s16, s16, 8
	s_addc_u32 s17, s17, 0
	v_or_b32_e32 v19, v7, v19
	s_or_b64 s[14:15], vcc, s[14:15]
	v_or_b32_e32 v18, v6, v18
	s_andn2_b64 exec, exec, s[14:15]
	s_cbranch_execnz .LBB2_30
; %bb.31:                               ;   in Loop: Header=BB2_3 Depth=1
	s_or_b64 exec, exec, s[14:15]
.LBB2_32:                               ;   in Loop: Header=BB2_3 Depth=1
	s_or_b64 exec, exec, s[12:13]
	v_mov_b32_e32 v6, v20
	v_mov_b32_e32 v7, v21
                                        ; implicit-def: $vgpr0
.LBB2_33:                               ;   in Loop: Header=BB2_3 Depth=1
	s_or_saveexec_b64 s[4:5], s[4:5]
	v_mov_b32_e32 v2, 0
	s_xor_b64 exec, exec, s[4:5]
	s_cbranch_execz .LBB2_35
; %bb.34:                               ;   in Loop: Header=BB2_3 Depth=1
	global_load_dwordx2 v[18:19], v[20:21], off
	v_add_u32_e32 v2, -8, v0
.LBB2_35:                               ;   in Loop: Header=BB2_3 Depth=1
	s_or_b64 exec, exec, s[4:5]
	v_add_co_u32_e64 v24, s[4:5], 8, v6
	v_cmp_gt_u32_e32 vcc, 8, v2
	v_addc_co_u32_e64 v25, s[4:5], 0, v7, s[4:5]
	s_and_saveexec_b64 s[4:5], vcc
	s_xor_b64 s[4:5], exec, s[4:5]
	s_cbranch_execz .LBB2_41
; %bb.36:                               ;   in Loop: Header=BB2_3 Depth=1
	v_mov_b32_e32 v20, 0
	v_mov_b32_e32 v21, 0
	v_cmp_ne_u32_e32 vcc, 0, v2
	s_and_saveexec_b64 s[12:13], vcc
	s_cbranch_execz .LBB2_40
; %bb.37:                               ;   in Loop: Header=BB2_3 Depth=1
	v_mov_b32_e32 v20, 0
	s_mov_b64 s[14:15], 0
	v_mov_b32_e32 v21, 0
	s_mov_b64 s[16:17], 0
	s_mov_b64 s[18:19], 0
.LBB2_38:                               ;   Parent Loop BB2_3 Depth=1
                                        ; =>  This Inner Loop Header: Depth=2
	v_mov_b32_e32 v0, s19
	v_add_co_u32_e32 v22, vcc, s18, v6
	v_addc_co_u32_e32 v23, vcc, v7, v0, vcc
	global_load_ubyte v0, v[22:23], off
	s_add_u32 s18, s18, 1
	v_mov_b32_e32 v23, s20
	s_addc_u32 s19, s19, 0
	v_cmp_eq_u32_e32 vcc, s18, v2
	s_waitcnt vmcnt(0)
	v_and_b32_e32 v22, 0xffff, v0
	v_lshlrev_b64 v[22:23], s16, v[22:23]
	s_add_u32 s16, s16, 8
	s_addc_u32 s17, s17, 0
	v_or_b32_e32 v21, v23, v21
	s_or_b64 s[14:15], vcc, s[14:15]
	v_or_b32_e32 v20, v22, v20
	s_andn2_b64 exec, exec, s[14:15]
	s_cbranch_execnz .LBB2_38
; %bb.39:                               ;   in Loop: Header=BB2_3 Depth=1
	s_or_b64 exec, exec, s[14:15]
.LBB2_40:                               ;   in Loop: Header=BB2_3 Depth=1
	s_or_b64 exec, exec, s[12:13]
	v_mov_b32_e32 v25, v7
	v_mov_b32_e32 v24, v6
                                        ; implicit-def: $vgpr2
.LBB2_41:                               ;   in Loop: Header=BB2_3 Depth=1
	s_or_saveexec_b64 s[4:5], s[4:5]
	v_mov_b32_e32 v0, 0
	s_xor_b64 exec, exec, s[4:5]
	s_cbranch_execz .LBB2_43
; %bb.42:                               ;   in Loop: Header=BB2_3 Depth=1
	global_load_dwordx2 v[20:21], v[6:7], off
	v_add_u32_e32 v0, -8, v2
.LBB2_43:                               ;   in Loop: Header=BB2_3 Depth=1
	s_or_b64 exec, exec, s[4:5]
	v_add_co_u32_e64 v6, s[4:5], 8, v24
	v_cmp_gt_u32_e32 vcc, 8, v0
	v_addc_co_u32_e64 v7, s[4:5], 0, v25, s[4:5]
                                        ; implicit-def: $vgpr22_vgpr23
	s_and_saveexec_b64 s[4:5], vcc
	s_xor_b64 s[4:5], exec, s[4:5]
	s_cbranch_execz .LBB2_49
; %bb.44:                               ;   in Loop: Header=BB2_3 Depth=1
	v_mov_b32_e32 v22, 0
	v_mov_b32_e32 v23, 0
	v_cmp_ne_u32_e32 vcc, 0, v0
	s_and_saveexec_b64 s[12:13], vcc
	s_cbranch_execz .LBB2_48
; %bb.45:                               ;   in Loop: Header=BB2_3 Depth=1
	v_mov_b32_e32 v22, 0
	s_mov_b64 s[14:15], 0
	v_mov_b32_e32 v23, 0
	s_mov_b64 s[16:17], 0
	s_mov_b64 s[18:19], 0
.LBB2_46:                               ;   Parent Loop BB2_3 Depth=1
                                        ; =>  This Inner Loop Header: Depth=2
	v_mov_b32_e32 v2, s19
	v_add_co_u32_e32 v6, vcc, s18, v24
	v_addc_co_u32_e32 v7, vcc, v25, v2, vcc
	global_load_ubyte v2, v[6:7], off
	s_add_u32 s18, s18, 1
	v_mov_b32_e32 v7, s20
	s_addc_u32 s19, s19, 0
	v_cmp_eq_u32_e32 vcc, s18, v0
	s_waitcnt vmcnt(0)
	v_and_b32_e32 v6, 0xffff, v2
	v_lshlrev_b64 v[6:7], s16, v[6:7]
	s_add_u32 s16, s16, 8
	s_addc_u32 s17, s17, 0
	v_or_b32_e32 v23, v7, v23
	s_or_b64 s[14:15], vcc, s[14:15]
	v_or_b32_e32 v22, v6, v22
	s_andn2_b64 exec, exec, s[14:15]
	s_cbranch_execnz .LBB2_46
; %bb.47:                               ;   in Loop: Header=BB2_3 Depth=1
	s_or_b64 exec, exec, s[14:15]
.LBB2_48:                               ;   in Loop: Header=BB2_3 Depth=1
	s_or_b64 exec, exec, s[12:13]
	v_mov_b32_e32 v6, v24
	v_mov_b32_e32 v7, v25
                                        ; implicit-def: $vgpr0
.LBB2_49:                               ;   in Loop: Header=BB2_3 Depth=1
	s_or_saveexec_b64 s[4:5], s[4:5]
	v_mov_b32_e32 v2, 0
	s_xor_b64 exec, exec, s[4:5]
	s_cbranch_execz .LBB2_51
; %bb.50:                               ;   in Loop: Header=BB2_3 Depth=1
	global_load_dwordx2 v[22:23], v[24:25], off
	v_add_u32_e32 v2, -8, v0
.LBB2_51:                               ;   in Loop: Header=BB2_3 Depth=1
	s_or_b64 exec, exec, s[4:5]
	v_cmp_gt_u32_e32 vcc, 8, v2
	s_and_saveexec_b64 s[4:5], vcc
	s_xor_b64 s[4:5], exec, s[4:5]
	s_cbranch_execz .LBB2_57
; %bb.52:                               ;   in Loop: Header=BB2_3 Depth=1
	v_mov_b32_e32 v24, 0
	v_mov_b32_e32 v25, 0
	v_cmp_ne_u32_e32 vcc, 0, v2
	s_and_saveexec_b64 s[12:13], vcc
	s_cbranch_execz .LBB2_56
; %bb.53:                               ;   in Loop: Header=BB2_3 Depth=1
	v_mov_b32_e32 v24, 0
	s_mov_b64 s[14:15], 0
	v_mov_b32_e32 v25, 0
	s_mov_b64 s[16:17], 0
.LBB2_54:                               ;   Parent Loop BB2_3 Depth=1
                                        ; =>  This Inner Loop Header: Depth=2
	global_load_ubyte v0, v[6:7], off
	v_mov_b32_e32 v27, s20
	v_add_co_u32_e32 v6, vcc, 1, v6
	v_add_u32_e32 v2, -1, v2
	v_addc_co_u32_e32 v7, vcc, 0, v7, vcc
	v_cmp_eq_u32_e32 vcc, 0, v2
	s_waitcnt vmcnt(0)
	v_and_b32_e32 v26, 0xffff, v0
	v_lshlrev_b64 v[26:27], s16, v[26:27]
	s_add_u32 s16, s16, 8
	s_addc_u32 s17, s17, 0
	v_or_b32_e32 v25, v27, v25
	s_or_b64 s[14:15], vcc, s[14:15]
	v_or_b32_e32 v24, v26, v24
	s_andn2_b64 exec, exec, s[14:15]
	s_cbranch_execnz .LBB2_54
; %bb.55:                               ;   in Loop: Header=BB2_3 Depth=1
	s_or_b64 exec, exec, s[14:15]
.LBB2_56:                               ;   in Loop: Header=BB2_3 Depth=1
	s_or_b64 exec, exec, s[12:13]
                                        ; implicit-def: $vgpr6_vgpr7
.LBB2_57:                               ;   in Loop: Header=BB2_3 Depth=1
	s_andn2_saveexec_b64 s[4:5], s[4:5]
	s_cbranch_execz .LBB2_59
; %bb.58:                               ;   in Loop: Header=BB2_3 Depth=1
	global_load_dwordx2 v[24:25], v[6:7], off
.LBB2_59:                               ;   in Loop: Header=BB2_3 Depth=1
	s_or_b64 exec, exec, s[4:5]
	v_readfirstlane_b32 s4, v39
	v_mov_b32_e32 v6, 0
	v_mov_b32_e32 v7, 0
	v_cmp_eq_u32_e64 s[4:5], s4, v39
	s_and_saveexec_b64 s[12:13], s[4:5]
	s_cbranch_execz .LBB2_65
; %bb.60:                               ;   in Loop: Header=BB2_3 Depth=1
	s_waitcnt lgkmcnt(0)
	global_load_dwordx2 v[28:29], v3, s[10:11] offset:24 glc
	s_waitcnt vmcnt(0)
	buffer_wbinvl1_vol
	global_load_dwordx2 v[6:7], v3, s[10:11] offset:40
	global_load_dwordx2 v[26:27], v3, s[10:11]
	s_waitcnt vmcnt(1)
	v_and_b32_e32 v0, v6, v28
	v_and_b32_e32 v2, v7, v29
	v_mul_lo_u32 v2, v2, 24
	v_mul_hi_u32 v6, v0, 24
	v_mul_lo_u32 v0, v0, 24
	v_add_u32_e32 v2, v6, v2
	s_waitcnt vmcnt(0)
	v_add_co_u32_e32 v6, vcc, v26, v0
	v_addc_co_u32_e32 v7, vcc, v27, v2, vcc
	global_load_dwordx2 v[26:27], v[6:7], off glc
	s_waitcnt vmcnt(0)
	global_atomic_cmpswap_x2 v[6:7], v3, v[26:29], s[10:11] offset:24 glc
	s_waitcnt vmcnt(0)
	buffer_wbinvl1_vol
	v_cmp_ne_u64_e32 vcc, v[6:7], v[28:29]
	s_and_saveexec_b64 s[14:15], vcc
	s_cbranch_execz .LBB2_64
; %bb.61:                               ;   in Loop: Header=BB2_3 Depth=1
	s_mov_b64 s[16:17], 0
.LBB2_62:                               ;   Parent Loop BB2_3 Depth=1
                                        ; =>  This Inner Loop Header: Depth=2
	s_sleep 1
	global_load_dwordx2 v[26:27], v3, s[10:11] offset:40
	global_load_dwordx2 v[34:35], v3, s[10:11]
	v_mov_b32_e32 v29, v7
	v_mov_b32_e32 v28, v6
	s_waitcnt vmcnt(1)
	v_and_b32_e32 v0, v26, v28
	s_waitcnt vmcnt(0)
	v_mad_u64_u32 v[6:7], s[18:19], v0, 24, v[34:35]
	v_and_b32_e32 v2, v27, v29
	v_mov_b32_e32 v0, v7
	v_mad_u64_u32 v[26:27], s[18:19], v2, 24, v[0:1]
	v_mov_b32_e32 v7, v26
	global_load_dwordx2 v[26:27], v[6:7], off glc
	s_waitcnt vmcnt(0)
	global_atomic_cmpswap_x2 v[6:7], v3, v[26:29], s[10:11] offset:24 glc
	s_waitcnt vmcnt(0)
	buffer_wbinvl1_vol
	v_cmp_eq_u64_e32 vcc, v[6:7], v[28:29]
	s_or_b64 s[16:17], vcc, s[16:17]
	s_andn2_b64 exec, exec, s[16:17]
	s_cbranch_execnz .LBB2_62
; %bb.63:                               ;   in Loop: Header=BB2_3 Depth=1
	s_or_b64 exec, exec, s[16:17]
.LBB2_64:                               ;   in Loop: Header=BB2_3 Depth=1
	s_or_b64 exec, exec, s[14:15]
.LBB2_65:                               ;   in Loop: Header=BB2_3 Depth=1
	s_or_b64 exec, exec, s[12:13]
	s_waitcnt lgkmcnt(0)
	global_load_dwordx2 v[34:35], v3, s[10:11] offset:40
	global_load_dwordx4 v[26:29], v3, s[10:11]
	v_readfirstlane_b32 s13, v7
	v_readfirstlane_b32 s12, v6
	s_mov_b64 s[14:15], exec
	s_waitcnt vmcnt(1)
	v_readfirstlane_b32 s16, v34
	v_readfirstlane_b32 s17, v35
	s_and_b64 s[16:17], s[16:17], s[12:13]
	s_mul_i32 s18, s17, 24
	s_mul_hi_u32 s19, s16, 24
	s_mul_i32 s22, s16, 24
	s_add_i32 s18, s19, s18
	v_mov_b32_e32 v0, s18
	s_waitcnt vmcnt(0)
	v_add_co_u32_e32 v34, vcc, s22, v26
	v_addc_co_u32_e32 v35, vcc, v27, v0, vcc
	s_and_saveexec_b64 s[18:19], s[4:5]
	s_cbranch_execz .LBB2_67
; %bb.66:                               ;   in Loop: Header=BB2_3 Depth=1
	v_mov_b32_e32 v6, s14
	v_mov_b32_e32 v7, s15
	global_store_dwordx4 v[34:35], v[6:9], off offset:8
.LBB2_67:                               ;   in Loop: Header=BB2_3 Depth=1
	s_or_b64 exec, exec, s[18:19]
	s_lshl_b64 s[14:15], s[16:17], 12
	v_mov_b32_e32 v2, s15
	v_add_co_u32_e32 v0, vcc, s14, v28
	v_addc_co_u32_e32 v28, vcc, v29, v2, vcc
	v_cmp_gt_u64_e32 vcc, 57, v[4:5]
	v_and_b32_e32 v7, 0xffffff1f, v10
	v_cndmask_b32_e32 v2, 0, v38, vcc
	v_lshl_add_u32 v6, v32, 2, 28
	v_or_b32_e32 v2, v7, v2
	v_and_or_b32 v10, v6, s21, v2
	v_lshlrev_b32_e32 v29, 6, v39
	v_readfirstlane_b32 s14, v0
	v_readfirstlane_b32 s15, v28
	s_nop 4
	global_store_dwordx4 v29, v[10:13], s[14:15]
	global_store_dwordx4 v29, v[14:17], s[14:15] offset:16
	global_store_dwordx4 v29, v[18:21], s[14:15] offset:32
	;; [unrolled: 1-line block ×3, first 2 shown]
	s_and_saveexec_b64 s[14:15], s[4:5]
	s_cbranch_execz .LBB2_75
; %bb.68:                               ;   in Loop: Header=BB2_3 Depth=1
	global_load_dwordx2 v[14:15], v3, s[10:11] offset:32 glc
	global_load_dwordx2 v[6:7], v3, s[10:11] offset:40
	v_mov_b32_e32 v12, s12
	v_mov_b32_e32 v13, s13
	s_waitcnt vmcnt(0)
	v_readfirstlane_b32 s16, v6
	v_readfirstlane_b32 s17, v7
	s_and_b64 s[16:17], s[16:17], s[12:13]
	s_mul_i32 s17, s17, 24
	s_mul_hi_u32 s18, s16, 24
	s_mul_i32 s16, s16, 24
	s_add_i32 s17, s18, s17
	v_mov_b32_e32 v2, s17
	v_add_co_u32_e32 v6, vcc, s16, v26
	v_addc_co_u32_e32 v7, vcc, v27, v2, vcc
	global_store_dwordx2 v[6:7], v[14:15], off
	s_waitcnt vmcnt(0)
	global_atomic_cmpswap_x2 v[12:13], v3, v[12:15], s[10:11] offset:32 glc
	s_waitcnt vmcnt(0)
	v_cmp_ne_u64_e32 vcc, v[12:13], v[14:15]
	s_and_saveexec_b64 s[16:17], vcc
	s_cbranch_execz .LBB2_71
; %bb.69:                               ;   in Loop: Header=BB2_3 Depth=1
	s_mov_b64 s[18:19], 0
.LBB2_70:                               ;   Parent Loop BB2_3 Depth=1
                                        ; =>  This Inner Loop Header: Depth=2
	s_sleep 1
	global_store_dwordx2 v[6:7], v[12:13], off
	v_mov_b32_e32 v10, s12
	v_mov_b32_e32 v11, s13
	s_waitcnt vmcnt(0)
	global_atomic_cmpswap_x2 v[10:11], v3, v[10:13], s[10:11] offset:32 glc
	s_waitcnt vmcnt(0)
	v_cmp_eq_u64_e32 vcc, v[10:11], v[12:13]
	v_mov_b32_e32 v13, v11
	s_or_b64 s[18:19], vcc, s[18:19]
	v_mov_b32_e32 v12, v10
	s_andn2_b64 exec, exec, s[18:19]
	s_cbranch_execnz .LBB2_70
.LBB2_71:                               ;   in Loop: Header=BB2_3 Depth=1
	s_or_b64 exec, exec, s[16:17]
	global_load_dwordx2 v[6:7], v3, s[10:11] offset:16
	s_mov_b64 s[18:19], exec
	v_mbcnt_lo_u32_b32 v2, s18, 0
	v_mbcnt_hi_u32_b32 v2, s19, v2
	v_cmp_eq_u32_e32 vcc, 0, v2
	s_and_saveexec_b64 s[16:17], vcc
	s_cbranch_execz .LBB2_73
; %bb.72:                               ;   in Loop: Header=BB2_3 Depth=1
	s_bcnt1_i32_b64 s18, s[18:19]
	v_mov_b32_e32 v2, s18
	s_waitcnt vmcnt(0)
	global_atomic_add_x2 v[6:7], v[2:3], off offset:8
.LBB2_73:                               ;   in Loop: Header=BB2_3 Depth=1
	s_or_b64 exec, exec, s[16:17]
	s_waitcnt vmcnt(0)
	global_load_dwordx2 v[10:11], v[6:7], off offset:16
	s_waitcnt vmcnt(0)
	v_cmp_eq_u64_e32 vcc, 0, v[10:11]
	s_cbranch_vccnz .LBB2_75
; %bb.74:                               ;   in Loop: Header=BB2_3 Depth=1
	global_load_dword v2, v[6:7], off offset:24
	s_waitcnt vmcnt(0)
	v_readfirstlane_b32 s16, v2
	s_and_b32 m0, s16, 0xffffff
	global_store_dwordx2 v[10:11], v[2:3], off
	s_sendmsg sendmsg(MSG_INTERRUPT)
.LBB2_75:                               ;   in Loop: Header=BB2_3 Depth=1
	s_or_b64 exec, exec, s[14:15]
	v_add_co_u32_e32 v6, vcc, v0, v29
	v_addc_co_u32_e32 v7, vcc, 0, v28, vcc
	s_branch .LBB2_79
.LBB2_76:                               ;   in Loop: Header=BB2_79 Depth=2
	s_or_b64 exec, exec, s[14:15]
	v_readfirstlane_b32 s14, v0
	s_cmp_eq_u32 s14, 0
	s_cbranch_scc1 .LBB2_78
; %bb.77:                               ;   in Loop: Header=BB2_79 Depth=2
	s_sleep 1
	s_cbranch_execnz .LBB2_79
	s_branch .LBB2_81
.LBB2_78:                               ;   in Loop: Header=BB2_3 Depth=1
	s_branch .LBB2_81
.LBB2_79:                               ;   Parent Loop BB2_3 Depth=1
                                        ; =>  This Inner Loop Header: Depth=2
	v_mov_b32_e32 v0, 1
	s_and_saveexec_b64 s[14:15], s[4:5]
	s_cbranch_execz .LBB2_76
; %bb.80:                               ;   in Loop: Header=BB2_79 Depth=2
	global_load_dword v0, v[34:35], off offset:20 glc
	s_waitcnt vmcnt(0)
	buffer_wbinvl1_vol
	v_and_b32_e32 v0, 1, v0
	s_branch .LBB2_76
.LBB2_81:                               ;   in Loop: Header=BB2_3 Depth=1
	global_load_dwordx4 v[10:13], v[6:7], off
	s_and_saveexec_b64 s[14:15], s[4:5]
	s_cbranch_execz .LBB2_2
; %bb.82:                               ;   in Loop: Header=BB2_3 Depth=1
	global_load_dwordx2 v[6:7], v3, s[10:11] offset:40
	global_load_dwordx2 v[16:17], v3, s[10:11] offset:24 glc
	global_load_dwordx2 v[12:13], v3, s[10:11]
	s_waitcnt vmcnt(2)
	v_readfirstlane_b32 s16, v6
	v_readfirstlane_b32 s17, v7
	s_add_u32 s18, s16, 1
	s_addc_u32 s19, s17, 0
	s_add_u32 s4, s18, s12
	s_addc_u32 s5, s19, s13
	s_cmp_eq_u64 s[4:5], 0
	s_cselect_b32 s5, s19, s5
	s_cselect_b32 s4, s18, s4
	s_and_b64 s[12:13], s[4:5], s[16:17]
	s_mul_i32 s13, s13, 24
	s_mul_hi_u32 s16, s12, 24
	s_mul_i32 s12, s12, 24
	s_add_i32 s13, s16, s13
	v_mov_b32_e32 v0, s13
	s_waitcnt vmcnt(0)
	v_add_co_u32_e32 v6, vcc, s12, v12
	v_addc_co_u32_e32 v7, vcc, v13, v0, vcc
	v_mov_b32_e32 v14, s4
	global_store_dwordx2 v[6:7], v[16:17], off
	v_mov_b32_e32 v15, s5
	s_waitcnt vmcnt(0)
	global_atomic_cmpswap_x2 v[14:15], v3, v[14:17], s[10:11] offset:24 glc
	s_waitcnt vmcnt(0)
	v_cmp_ne_u64_e32 vcc, v[14:15], v[16:17]
	s_and_b64 exec, exec, vcc
	s_cbranch_execz .LBB2_2
; %bb.83:                               ;   in Loop: Header=BB2_3 Depth=1
	s_mov_b64 s[12:13], 0
.LBB2_84:                               ;   Parent Loop BB2_3 Depth=1
                                        ; =>  This Inner Loop Header: Depth=2
	s_sleep 1
	global_store_dwordx2 v[6:7], v[14:15], off
	v_mov_b32_e32 v12, s4
	v_mov_b32_e32 v13, s5
	s_waitcnt vmcnt(0)
	global_atomic_cmpswap_x2 v[12:13], v3, v[12:15], s[10:11] offset:24 glc
	s_waitcnt vmcnt(0)
	v_cmp_eq_u64_e32 vcc, v[12:13], v[14:15]
	v_mov_b32_e32 v15, v13
	s_or_b64 s[12:13], vcc, s[12:13]
	v_mov_b32_e32 v14, v12
	s_andn2_b64 exec, exec, s[12:13]
	s_cbranch_execnz .LBB2_84
	s_branch .LBB2_2
.LBB2_85:
	s_or_b64 exec, exec, s[6:7]
	s_branch .LBB2_113
.LBB2_86:
	s_load_dwordx2 s[6:7], s[8:9], 0x50
	v_mbcnt_hi_u32_b32 v3, -1, v37
	v_readfirstlane_b32 s4, v3
	v_mov_b32_e32 v8, 0
	v_mov_b32_e32 v9, 0
	v_cmp_eq_u32_e64 s[4:5], s4, v3
	s_and_saveexec_b64 s[8:9], s[4:5]
	s_cbranch_execz .LBB2_92
; %bb.87:
	v_mov_b32_e32 v0, 0
	s_waitcnt lgkmcnt(0)
	global_load_dwordx2 v[6:7], v0, s[6:7] offset:24 glc
	s_waitcnt vmcnt(0)
	buffer_wbinvl1_vol
	global_load_dwordx2 v[4:5], v0, s[6:7] offset:40
	global_load_dwordx2 v[8:9], v0, s[6:7]
	s_waitcnt vmcnt(1)
	v_and_b32_e32 v2, v4, v6
	v_and_b32_e32 v4, v5, v7
	v_mul_lo_u32 v4, v4, 24
	v_mul_hi_u32 v5, v2, 24
	v_mul_lo_u32 v2, v2, 24
	v_add_u32_e32 v5, v5, v4
	s_waitcnt vmcnt(0)
	v_add_co_u32_e32 v4, vcc, v8, v2
	v_addc_co_u32_e32 v5, vcc, v9, v5, vcc
	global_load_dwordx2 v[4:5], v[4:5], off glc
	s_waitcnt vmcnt(0)
	global_atomic_cmpswap_x2 v[8:9], v0, v[4:7], s[6:7] offset:24 glc
	s_waitcnt vmcnt(0)
	buffer_wbinvl1_vol
	v_cmp_ne_u64_e32 vcc, v[8:9], v[6:7]
	s_and_saveexec_b64 s[10:11], vcc
	s_cbranch_execz .LBB2_91
; %bb.88:
	s_mov_b64 s[12:13], 0
.LBB2_89:                               ; =>This Inner Loop Header: Depth=1
	s_sleep 1
	global_load_dwordx2 v[4:5], v0, s[6:7] offset:40
	global_load_dwordx2 v[10:11], v0, s[6:7]
	v_mov_b32_e32 v6, v8
	v_mov_b32_e32 v7, v9
	s_waitcnt vmcnt(1)
	v_and_b32_e32 v2, v4, v6
	s_waitcnt vmcnt(0)
	v_mad_u64_u32 v[8:9], s[14:15], v2, 24, v[10:11]
	v_and_b32_e32 v4, v5, v7
	v_mov_b32_e32 v2, v9
	v_mad_u64_u32 v[4:5], s[14:15], v4, 24, v[2:3]
	v_mov_b32_e32 v9, v4
	global_load_dwordx2 v[4:5], v[8:9], off glc
	s_waitcnt vmcnt(0)
	global_atomic_cmpswap_x2 v[8:9], v0, v[4:7], s[6:7] offset:24 glc
	s_waitcnt vmcnt(0)
	buffer_wbinvl1_vol
	v_cmp_eq_u64_e32 vcc, v[8:9], v[6:7]
	s_or_b64 s[12:13], vcc, s[12:13]
	s_andn2_b64 exec, exec, s[12:13]
	s_cbranch_execnz .LBB2_89
; %bb.90:
	s_or_b64 exec, exec, s[12:13]
.LBB2_91:
	s_or_b64 exec, exec, s[10:11]
.LBB2_92:
	s_or_b64 exec, exec, s[8:9]
	v_mov_b32_e32 v2, 0
	s_waitcnt lgkmcnt(0)
	global_load_dwordx2 v[10:11], v2, s[6:7] offset:40
	global_load_dwordx4 v[4:7], v2, s[6:7]
	v_readfirstlane_b32 s9, v9
	v_readfirstlane_b32 s8, v8
	s_mov_b64 s[10:11], exec
	s_waitcnt vmcnt(1)
	v_readfirstlane_b32 s12, v10
	v_readfirstlane_b32 s13, v11
	s_and_b64 s[12:13], s[12:13], s[8:9]
	s_mul_i32 s14, s13, 24
	s_mul_hi_u32 s15, s12, 24
	s_mul_i32 s16, s12, 24
	s_add_i32 s14, s15, s14
	v_mov_b32_e32 v0, s14
	s_waitcnt vmcnt(0)
	v_add_co_u32_e32 v8, vcc, s16, v4
	v_addc_co_u32_e32 v9, vcc, v5, v0, vcc
	s_and_saveexec_b64 s[14:15], s[4:5]
	s_cbranch_execz .LBB2_94
; %bb.93:
	v_mov_b32_e32 v10, s10
	v_mov_b32_e32 v11, s11
	;; [unrolled: 1-line block ×4, first 2 shown]
	global_store_dwordx4 v[8:9], v[10:13], off offset:8
.LBB2_94:
	s_or_b64 exec, exec, s[14:15]
	s_lshl_b64 s[10:11], s[12:13], 12
	v_mov_b32_e32 v0, s11
	v_add_co_u32_e32 v6, vcc, s10, v6
	v_addc_co_u32_e32 v7, vcc, v7, v0, vcc
	s_movk_i32 s10, 0xff1f
	v_and_or_b32 v0, v36, s10, 32
	v_lshlrev_b32_e32 v10, 6, v3
	s_mov_b32 s12, 0
	v_mov_b32_e32 v3, v2
	v_readfirstlane_b32 s10, v6
	v_readfirstlane_b32 s11, v7
	s_mov_b32 s13, s12
	s_mov_b32 s14, s12
	;; [unrolled: 1-line block ×3, first 2 shown]
	s_nop 1
	global_store_dwordx4 v10, v[0:3], s[10:11]
	s_nop 0
	v_mov_b32_e32 v0, s12
	v_mov_b32_e32 v1, s13
	v_mov_b32_e32 v2, s14
	v_mov_b32_e32 v3, s15
	global_store_dwordx4 v10, v[0:3], s[10:11] offset:16
	global_store_dwordx4 v10, v[0:3], s[10:11] offset:32
	;; [unrolled: 1-line block ×3, first 2 shown]
	s_and_saveexec_b64 s[10:11], s[4:5]
	s_cbranch_execz .LBB2_102
; %bb.95:
	v_mov_b32_e32 v6, 0
	global_load_dwordx2 v[12:13], v6, s[6:7] offset:32 glc
	global_load_dwordx2 v[0:1], v6, s[6:7] offset:40
	v_mov_b32_e32 v10, s8
	v_mov_b32_e32 v11, s9
	s_waitcnt vmcnt(0)
	v_and_b32_e32 v0, s8, v0
	v_and_b32_e32 v1, s9, v1
	v_mul_lo_u32 v1, v1, 24
	v_mul_hi_u32 v2, v0, 24
	v_mul_lo_u32 v0, v0, 24
	v_add_u32_e32 v1, v2, v1
	v_add_co_u32_e32 v4, vcc, v4, v0
	v_addc_co_u32_e32 v5, vcc, v5, v1, vcc
	global_store_dwordx2 v[4:5], v[12:13], off
	s_waitcnt vmcnt(0)
	global_atomic_cmpswap_x2 v[2:3], v6, v[10:13], s[6:7] offset:32 glc
	s_waitcnt vmcnt(0)
	v_cmp_ne_u64_e32 vcc, v[2:3], v[12:13]
	s_and_saveexec_b64 s[12:13], vcc
	s_cbranch_execz .LBB2_98
; %bb.96:
	s_mov_b64 s[14:15], 0
.LBB2_97:                               ; =>This Inner Loop Header: Depth=1
	s_sleep 1
	global_store_dwordx2 v[4:5], v[2:3], off
	v_mov_b32_e32 v0, s8
	v_mov_b32_e32 v1, s9
	s_waitcnt vmcnt(0)
	global_atomic_cmpswap_x2 v[0:1], v6, v[0:3], s[6:7] offset:32 glc
	s_waitcnt vmcnt(0)
	v_cmp_eq_u64_e32 vcc, v[0:1], v[2:3]
	v_mov_b32_e32 v3, v1
	s_or_b64 s[14:15], vcc, s[14:15]
	v_mov_b32_e32 v2, v0
	s_andn2_b64 exec, exec, s[14:15]
	s_cbranch_execnz .LBB2_97
.LBB2_98:
	s_or_b64 exec, exec, s[12:13]
	v_mov_b32_e32 v3, 0
	global_load_dwordx2 v[0:1], v3, s[6:7] offset:16
	s_mov_b64 s[12:13], exec
	v_mbcnt_lo_u32_b32 v2, s12, 0
	v_mbcnt_hi_u32_b32 v2, s13, v2
	v_cmp_eq_u32_e32 vcc, 0, v2
	s_and_saveexec_b64 s[14:15], vcc
	s_cbranch_execz .LBB2_100
; %bb.99:
	s_bcnt1_i32_b64 s12, s[12:13]
	v_mov_b32_e32 v2, s12
	s_waitcnt vmcnt(0)
	global_atomic_add_x2 v[0:1], v[2:3], off offset:8
.LBB2_100:
	s_or_b64 exec, exec, s[14:15]
	s_waitcnt vmcnt(0)
	global_load_dwordx2 v[2:3], v[0:1], off offset:16
	s_waitcnt vmcnt(0)
	v_cmp_eq_u64_e32 vcc, 0, v[2:3]
	s_cbranch_vccnz .LBB2_102
; %bb.101:
	global_load_dword v0, v[0:1], off offset:24
	v_mov_b32_e32 v1, 0
	s_waitcnt vmcnt(0)
	v_readfirstlane_b32 s12, v0
	s_and_b32 m0, s12, 0xffffff
	global_store_dwordx2 v[2:3], v[0:1], off
	s_sendmsg sendmsg(MSG_INTERRUPT)
.LBB2_102:
	s_or_b64 exec, exec, s[10:11]
	s_branch .LBB2_106
.LBB2_103:                              ;   in Loop: Header=BB2_106 Depth=1
	s_or_b64 exec, exec, s[10:11]
	v_readfirstlane_b32 s10, v0
	s_cmp_eq_u32 s10, 0
	s_cbranch_scc1 .LBB2_105
; %bb.104:                              ;   in Loop: Header=BB2_106 Depth=1
	s_sleep 1
	s_cbranch_execnz .LBB2_106
	s_branch .LBB2_108
.LBB2_105:
	s_branch .LBB2_108
.LBB2_106:                              ; =>This Inner Loop Header: Depth=1
	v_mov_b32_e32 v0, 1
	s_and_saveexec_b64 s[10:11], s[4:5]
	s_cbranch_execz .LBB2_103
; %bb.107:                              ;   in Loop: Header=BB2_106 Depth=1
	global_load_dword v0, v[8:9], off offset:20 glc
	s_waitcnt vmcnt(0)
	buffer_wbinvl1_vol
	v_and_b32_e32 v0, 1, v0
	s_branch .LBB2_103
.LBB2_108:
	s_and_saveexec_b64 s[10:11], s[4:5]
	s_cbranch_execz .LBB2_111
; %bb.109:
	v_mov_b32_e32 v6, 0
	global_load_dwordx2 v[0:1], v6, s[6:7] offset:40
	global_load_dwordx2 v[9:10], v6, s[6:7] offset:24 glc
	global_load_dwordx2 v[2:3], v6, s[6:7]
	s_waitcnt vmcnt(2)
	v_readfirstlane_b32 s12, v0
	v_readfirstlane_b32 s13, v1
	s_add_u32 s14, s12, 1
	s_addc_u32 s15, s13, 0
	s_add_u32 s4, s14, s8
	s_addc_u32 s5, s15, s9
	s_cmp_eq_u64 s[4:5], 0
	s_cselect_b32 s5, s15, s5
	s_cselect_b32 s4, s14, s4
	s_and_b64 s[8:9], s[4:5], s[12:13]
	s_mul_i32 s9, s9, 24
	s_mul_hi_u32 s12, s8, 24
	s_mul_i32 s8, s8, 24
	s_add_i32 s9, s12, s9
	v_mov_b32_e32 v0, s9
	s_waitcnt vmcnt(0)
	v_add_co_u32_e32 v4, vcc, s8, v2
	v_addc_co_u32_e32 v5, vcc, v3, v0, vcc
	v_mov_b32_e32 v7, s4
	global_store_dwordx2 v[4:5], v[9:10], off
	v_mov_b32_e32 v8, s5
	s_waitcnt vmcnt(0)
	global_atomic_cmpswap_x2 v[2:3], v6, v[7:10], s[6:7] offset:24 glc
	s_mov_b64 s[8:9], 0
	s_waitcnt vmcnt(0)
	v_cmp_ne_u64_e32 vcc, v[2:3], v[9:10]
	s_and_b64 exec, exec, vcc
	s_cbranch_execz .LBB2_111
.LBB2_110:                              ; =>This Inner Loop Header: Depth=1
	s_sleep 1
	global_store_dwordx2 v[4:5], v[2:3], off
	v_mov_b32_e32 v0, s4
	v_mov_b32_e32 v1, s5
	s_waitcnt vmcnt(0)
	global_atomic_cmpswap_x2 v[0:1], v6, v[0:3], s[6:7] offset:24 glc
	s_waitcnt vmcnt(0)
	v_cmp_eq_u64_e32 vcc, v[0:1], v[2:3]
	v_mov_b32_e32 v3, v1
	s_or_b64 s[8:9], vcc, s[8:9]
	v_mov_b32_e32 v2, v0
	s_andn2_b64 exec, exec, s[8:9]
	s_cbranch_execnz .LBB2_110
.LBB2_111:
	s_or_b64 exec, exec, s[10:11]
	s_waitcnt vmcnt(0) lgkmcnt(0)
	s_setpc_b64 s[30:31]
.LBB2_112:
	s_cbranch_execnz .LBB2_86
.LBB2_113:
	s_waitcnt vmcnt(0) lgkmcnt(0)
	s_setpc_b64 s[30:31]
.Lfunc_end2:
	.size	__ockl_fprintf_append_string_n, .Lfunc_end2-__ockl_fprintf_append_string_n
                                        ; -- End function
	.set .L__ockl_fprintf_append_string_n.num_vgpr, 40
	.set .L__ockl_fprintf_append_string_n.num_agpr, 0
	.set .L__ockl_fprintf_append_string_n.numbered_sgpr, 32
	.set .L__ockl_fprintf_append_string_n.num_named_barrier, 0
	.set .L__ockl_fprintf_append_string_n.private_seg_size, 0
	.set .L__ockl_fprintf_append_string_n.uses_vcc, 1
	.set .L__ockl_fprintf_append_string_n.uses_flat_scratch, 0
	.set .L__ockl_fprintf_append_string_n.has_dyn_sized_stack, 0
	.set .L__ockl_fprintf_append_string_n.has_recursion, 0
	.set .L__ockl_fprintf_append_string_n.has_indirect_call, 0
	.section	.AMDGPU.csdata,"",@progbits
; Function info:
; codeLenInByte = 3900
; TotalNumSgprs: 36
; NumVgprs: 40
; ScratchSize: 0
; MemoryBound: 0
	.text
	.p2align	2                               ; -- Begin function __assert_fail
	.type	__assert_fail,@function
__assert_fail:                          ; @__assert_fail
; %bb.0:
	s_waitcnt vmcnt(0) expcnt(0) lgkmcnt(0)
	s_mov_b32 s25, s33
	s_mov_b32 s33, s32
	s_or_saveexec_b64 s[4:5], -1
	buffer_store_dword v40, off, s[0:3], s33 offset:48 ; 4-byte Folded Spill
	s_mov_b64 exec, s[4:5]
	v_writelane_b32 v40, s30, 0
	s_addk_i32 s32, 0x1000
	v_writelane_b32 v40, s31, 1
	v_mov_b32_e32 v8, 0
	s_getpc_b64 s[4:5]
	s_add_u32 s4, s4, __const.__assert_fail.fmt@rel32@lo+35
	s_addc_u32 s5, s5, __const.__assert_fail.fmt@rel32@hi+43
	v_mov_b32_e32 v5, v1
	v_mov_b32_e32 v4, v0
	global_load_dwordx4 v[0:3], v8, s[4:5]
	s_getpc_b64 s[16:17]
	s_add_u32 s16, s16, __const.__assert_fail.fmt@rel32@lo+4
	s_addc_u32 s17, s17, __const.__assert_fail.fmt@rel32@hi+12
	s_getpc_b64 s[18:19]
	s_add_u32 s18, s18, __const.__assert_fail.fmt@rel32@lo+20
	s_addc_u32 s19, s19, __const.__assert_fail.fmt@rel32@hi+28
	v_mbcnt_lo_u32_b32 v9, -1, 0
	s_load_dwordx4 s[4:7], s[16:17], 0x0
	s_load_dwordx4 s[12:15], s[18:19], 0x0
	s_load_dwordx2 s[10:11], s[8:9], 0x50
	v_mbcnt_hi_u32_b32 v34, -1, v9
	v_mov_b32_e32 v6, 0
	v_readfirstlane_b32 s16, v34
	v_mov_b32_e32 v7, 0
	s_waitcnt lgkmcnt(0)
	v_mov_b32_e32 v9, s7
	v_mov_b32_e32 v11, s5
	;; [unrolled: 1-line block ×3, first 2 shown]
	v_cmp_eq_u32_e64 s[4:5], s16, v34
	v_mov_b32_e32 v10, s6
	v_mov_b32_e32 v13, s15
	;; [unrolled: 1-line block ×5, first 2 shown]
	buffer_store_dword v9, off, s[0:3], s33 offset:12
	buffer_store_dword v10, off, s[0:3], s33 offset:8
	;; [unrolled: 1-line block ×3, first 2 shown]
	buffer_store_dword v12, off, s[0:3], s33
	buffer_store_dword v13, off, s[0:3], s33 offset:28
	buffer_store_dword v14, off, s[0:3], s33 offset:24
	;; [unrolled: 1-line block ×4, first 2 shown]
	s_waitcnt vmcnt(8)
	buffer_store_dword v3, off, s[0:3], s33 offset:43
	buffer_store_dword v2, off, s[0:3], s33 offset:39
	;; [unrolled: 1-line block ×4, first 2 shown]
	s_and_saveexec_b64 s[6:7], s[4:5]
	s_cbranch_execz .LBB3_6
; %bb.1:
	global_load_dwordx2 v[2:3], v8, s[10:11] offset:24 glc
	s_waitcnt vmcnt(0)
	buffer_wbinvl1_vol
	global_load_dwordx2 v[0:1], v8, s[10:11] offset:40
	global_load_dwordx2 v[6:7], v8, s[10:11]
	s_waitcnt vmcnt(1)
	v_and_b32_e32 v0, v0, v2
	v_and_b32_e32 v1, v1, v3
	v_mul_lo_u32 v1, v1, 24
	v_mul_hi_u32 v9, v0, 24
	v_mul_lo_u32 v0, v0, 24
	v_add_u32_e32 v1, v9, v1
	s_waitcnt vmcnt(0)
	v_add_co_u32_e32 v0, vcc, v6, v0
	v_addc_co_u32_e32 v1, vcc, v7, v1, vcc
	global_load_dwordx2 v[0:1], v[0:1], off glc
	s_waitcnt vmcnt(0)
	global_atomic_cmpswap_x2 v[6:7], v8, v[0:3], s[10:11] offset:24 glc
	s_waitcnt vmcnt(0)
	buffer_wbinvl1_vol
	v_cmp_ne_u64_e32 vcc, v[6:7], v[2:3]
	s_and_saveexec_b64 s[12:13], vcc
	s_cbranch_execz .LBB3_5
; %bb.2:
	s_mov_b64 s[14:15], 0
	v_mov_b32_e32 v0, 0
.LBB3_3:                                ; =>This Inner Loop Header: Depth=1
	s_sleep 1
	global_load_dwordx2 v[1:2], v0, s[10:11] offset:40
	global_load_dwordx2 v[9:10], v0, s[10:11]
	v_mov_b32_e32 v12, v7
	v_mov_b32_e32 v11, v6
	s_waitcnt vmcnt(1)
	v_and_b32_e32 v1, v1, v11
	s_waitcnt vmcnt(0)
	v_mad_u64_u32 v[6:7], s[16:17], v1, 24, v[9:10]
	v_and_b32_e32 v2, v2, v12
	v_mov_b32_e32 v1, v7
	v_mad_u64_u32 v[1:2], s[16:17], v2, 24, v[1:2]
	v_mov_b32_e32 v7, v1
	global_load_dwordx2 v[9:10], v[6:7], off glc
	s_waitcnt vmcnt(0)
	global_atomic_cmpswap_x2 v[6:7], v0, v[9:12], s[10:11] offset:24 glc
	s_waitcnt vmcnt(0)
	buffer_wbinvl1_vol
	v_cmp_eq_u64_e32 vcc, v[6:7], v[11:12]
	s_or_b64 s[14:15], vcc, s[14:15]
	s_andn2_b64 exec, exec, s[14:15]
	s_cbranch_execnz .LBB3_3
; %bb.4:
	s_or_b64 exec, exec, s[14:15]
.LBB3_5:
	s_or_b64 exec, exec, s[12:13]
.LBB3_6:
	s_or_b64 exec, exec, s[6:7]
	global_load_dwordx2 v[9:10], v8, s[10:11] offset:40
	global_load_dwordx4 v[0:3], v8, s[10:11]
	v_readfirstlane_b32 s7, v7
	v_readfirstlane_b32 s6, v6
	s_mov_b64 s[12:13], exec
	s_waitcnt vmcnt(1)
	v_readfirstlane_b32 s14, v9
	v_readfirstlane_b32 s15, v10
	s_and_b64 s[14:15], s[14:15], s[6:7]
	s_mul_i32 s16, s15, 24
	s_mul_hi_u32 s17, s14, 24
	s_mul_i32 s18, s14, 24
	s_add_i32 s16, s17, s16
	v_mov_b32_e32 v6, s16
	s_waitcnt vmcnt(0)
	v_add_co_u32_e32 v10, vcc, s18, v0
	v_addc_co_u32_e32 v11, vcc, v1, v6, vcc
	s_and_saveexec_b64 s[16:17], s[4:5]
	s_cbranch_execz .LBB3_8
; %bb.7:
	v_mov_b32_e32 v6, s12
	v_mov_b32_e32 v7, s13
	v_mov_b32_e32 v8, 2
	v_mov_b32_e32 v9, 1
	global_store_dwordx4 v[10:11], v[6:9], off offset:8
.LBB3_8:
	s_or_b64 exec, exec, s[16:17]
	s_lshl_b64 s[12:13], s[14:15], 12
	v_mov_b32_e32 v6, s13
	v_add_co_u32_e32 v2, vcc, s12, v2
	s_mov_b32 s12, 0
	v_addc_co_u32_e32 v3, vcc, v3, v6, vcc
	v_lshlrev_b32_e32 v35, 6, v34
	s_mov_b32 s15, s12
	v_mov_b32_e32 v7, 0
	v_add_co_u32_e32 v12, vcc, v2, v35
	s_mov_b32 s13, s12
	s_mov_b32 s14, s12
	v_mov_b32_e32 v17, s15
	v_addc_co_u32_e32 v13, vcc, 0, v3, vcc
	v_mov_b32_e32 v6, 33
	v_mov_b32_e32 v8, 1
	;; [unrolled: 1-line block ×3, first 2 shown]
	v_readfirstlane_b32 s16, v2
	v_readfirstlane_b32 s17, v3
	v_mov_b32_e32 v16, s14
	v_mov_b32_e32 v15, s13
	;; [unrolled: 1-line block ×3, first 2 shown]
	s_nop 1
	global_store_dwordx4 v35, v[6:9], s[16:17]
	global_store_dwordx4 v35, v[14:17], s[16:17] offset:16
	global_store_dwordx4 v35, v[14:17], s[16:17] offset:32
	;; [unrolled: 1-line block ×3, first 2 shown]
	s_and_saveexec_b64 s[12:13], s[4:5]
	s_cbranch_execz .LBB3_16
; %bb.9:
	global_load_dwordx2 v[16:17], v7, s[10:11] offset:32 glc
	global_load_dwordx2 v[2:3], v7, s[10:11] offset:40
	v_mov_b32_e32 v14, s6
	v_mov_b32_e32 v15, s7
	s_waitcnt vmcnt(0)
	v_and_b32_e32 v2, s6, v2
	v_and_b32_e32 v3, s7, v3
	v_mul_lo_u32 v3, v3, 24
	v_mul_hi_u32 v6, v2, 24
	v_mul_lo_u32 v2, v2, 24
	v_add_u32_e32 v3, v6, v3
	v_add_co_u32_e32 v8, vcc, v0, v2
	v_addc_co_u32_e32 v9, vcc, v1, v3, vcc
	global_store_dwordx2 v[8:9], v[16:17], off
	s_waitcnt vmcnt(0)
	global_atomic_cmpswap_x2 v[2:3], v7, v[14:17], s[10:11] offset:32 glc
	s_waitcnt vmcnt(0)
	v_cmp_ne_u64_e32 vcc, v[2:3], v[16:17]
	s_and_saveexec_b64 s[14:15], vcc
	s_cbranch_execz .LBB3_12
; %bb.10:
	s_mov_b64 s[16:17], 0
	v_mov_b32_e32 v6, 0
.LBB3_11:                               ; =>This Inner Loop Header: Depth=1
	s_sleep 1
	global_store_dwordx2 v[8:9], v[2:3], off
	v_mov_b32_e32 v0, s6
	v_mov_b32_e32 v1, s7
	s_waitcnt vmcnt(0)
	global_atomic_cmpswap_x2 v[0:1], v6, v[0:3], s[10:11] offset:32 glc
	s_waitcnt vmcnt(0)
	v_cmp_eq_u64_e32 vcc, v[0:1], v[2:3]
	v_mov_b32_e32 v3, v1
	s_or_b64 s[16:17], vcc, s[16:17]
	v_mov_b32_e32 v2, v0
	s_andn2_b64 exec, exec, s[16:17]
	s_cbranch_execnz .LBB3_11
.LBB3_12:
	s_or_b64 exec, exec, s[14:15]
	v_mov_b32_e32 v3, 0
	global_load_dwordx2 v[0:1], v3, s[10:11] offset:16
	s_mov_b64 s[14:15], exec
	v_mbcnt_lo_u32_b32 v2, s14, 0
	v_mbcnt_hi_u32_b32 v2, s15, v2
	v_cmp_eq_u32_e32 vcc, 0, v2
	s_and_saveexec_b64 s[16:17], vcc
	s_cbranch_execz .LBB3_14
; %bb.13:
	s_bcnt1_i32_b64 s14, s[14:15]
	v_mov_b32_e32 v2, s14
	s_waitcnt vmcnt(0)
	global_atomic_add_x2 v[0:1], v[2:3], off offset:8
.LBB3_14:
	s_or_b64 exec, exec, s[16:17]
	s_waitcnt vmcnt(0)
	global_load_dwordx2 v[2:3], v[0:1], off offset:16
	s_waitcnt vmcnt(0)
	v_cmp_eq_u64_e32 vcc, 0, v[2:3]
	s_cbranch_vccnz .LBB3_16
; %bb.15:
	global_load_dword v0, v[0:1], off offset:24
	v_mov_b32_e32 v1, 0
	s_waitcnt vmcnt(0)
	v_readfirstlane_b32 s14, v0
	s_and_b32 m0, s14, 0xffffff
	global_store_dwordx2 v[2:3], v[0:1], off
	s_sendmsg sendmsg(MSG_INTERRUPT)
.LBB3_16:
	s_or_b64 exec, exec, s[12:13]
	s_branch .LBB3_20
.LBB3_17:                               ;   in Loop: Header=BB3_20 Depth=1
	s_or_b64 exec, exec, s[12:13]
	v_readfirstlane_b32 s12, v0
	s_cmp_eq_u32 s12, 0
	s_cbranch_scc1 .LBB3_19
; %bb.18:                               ;   in Loop: Header=BB3_20 Depth=1
	s_sleep 1
	s_cbranch_execnz .LBB3_20
	s_branch .LBB3_22
.LBB3_19:
	s_branch .LBB3_22
.LBB3_20:                               ; =>This Inner Loop Header: Depth=1
	v_mov_b32_e32 v0, 1
	s_and_saveexec_b64 s[12:13], s[4:5]
	s_cbranch_execz .LBB3_17
; %bb.21:                               ;   in Loop: Header=BB3_20 Depth=1
	global_load_dword v0, v[10:11], off offset:20 glc
	s_waitcnt vmcnt(0)
	buffer_wbinvl1_vol
	v_and_b32_e32 v0, 1, v0
	s_branch .LBB3_17
.LBB3_22:
	global_load_dwordx2 v[6:7], v[12:13], off
	s_and_saveexec_b64 s[12:13], s[4:5]
	s_cbranch_execz .LBB3_25
; %bb.23:
	v_mov_b32_e32 v10, 0
	global_load_dwordx2 v[0:1], v10, s[10:11] offset:40
	global_load_dwordx2 v[13:14], v10, s[10:11] offset:24 glc
	global_load_dwordx2 v[2:3], v10, s[10:11]
	s_waitcnt vmcnt(2)
	v_readfirstlane_b32 s14, v0
	v_readfirstlane_b32 s15, v1
	s_add_u32 s16, s14, 1
	s_addc_u32 s17, s15, 0
	s_add_u32 s4, s16, s6
	s_addc_u32 s5, s17, s7
	s_cmp_eq_u64 s[4:5], 0
	s_cselect_b32 s5, s17, s5
	s_cselect_b32 s4, s16, s4
	s_and_b64 s[6:7], s[4:5], s[14:15]
	s_mul_i32 s7, s7, 24
	s_mul_hi_u32 s14, s6, 24
	s_mul_i32 s6, s6, 24
	s_add_i32 s7, s14, s7
	v_mov_b32_e32 v0, s7
	s_waitcnt vmcnt(0)
	v_add_co_u32_e32 v8, vcc, s6, v2
	v_addc_co_u32_e32 v9, vcc, v3, v0, vcc
	v_mov_b32_e32 v11, s4
	global_store_dwordx2 v[8:9], v[13:14], off
	v_mov_b32_e32 v12, s5
	s_waitcnt vmcnt(0)
	global_atomic_cmpswap_x2 v[2:3], v10, v[11:14], s[10:11] offset:24 glc
	s_mov_b64 s[6:7], 0
	s_waitcnt vmcnt(0)
	v_cmp_ne_u64_e32 vcc, v[2:3], v[13:14]
	s_and_b64 exec, exec, vcc
	s_cbranch_execz .LBB3_25
.LBB3_24:                               ; =>This Inner Loop Header: Depth=1
	s_sleep 1
	global_store_dwordx2 v[8:9], v[2:3], off
	v_mov_b32_e32 v0, s4
	v_mov_b32_e32 v1, s5
	s_waitcnt vmcnt(0)
	global_atomic_cmpswap_x2 v[0:1], v10, v[0:3], s[10:11] offset:24 glc
	s_waitcnt vmcnt(0)
	v_cmp_eq_u64_e32 vcc, v[0:1], v[2:3]
	v_mov_b32_e32 v3, v1
	s_or_b64 s[6:7], vcc, s[6:7]
	v_mov_b32_e32 v2, v0
	s_andn2_b64 exec, exec, s[6:7]
	s_cbranch_execnz .LBB3_24
.LBB3_25:
	s_or_b64 exec, exec, s[12:13]
	s_lshr_b32 s6, s33, 6
	s_mov_b64 s[4:5], 0
.LBB3_26:                               ; =>This Inner Loop Header: Depth=1
	v_mov_b32_e32 v0, s6
	buffer_load_ubyte v1, v0, s[0:3], 0 offen
	s_add_i32 s6, s6, 1
	v_mov_b32_e32 v0, s6
	s_waitcnt vmcnt(0)
	v_cmp_eq_u16_e32 vcc, 0, v1
	s_or_b64 s[4:5], vcc, s[4:5]
	s_andn2_b64 exec, exec, s[4:5]
	s_cbranch_execnz .LBB3_26
; %bb.27:
	s_or_b64 exec, exec, s[4:5]
	s_lshr_b32 s4, s33, 6
	s_cmp_lg_u32 s4, -1
	s_cbranch_scc0 .LBB3_112
; %bb.28:
	v_lshrrev_b32_e64 v1, 6, s33
	v_subrev_u32_e32 v28, v1, v0
	v_ashrrev_i32_e32 v29, 31, v28
	v_and_b32_e32 v36, 2, v6
	v_mov_b32_e32 v31, 0
	v_and_b32_e32 v0, -3, v6
	v_mov_b32_e32 v1, v7
	s_mov_b64 s[12:13], 0
	v_lshrrev_b32_e64 v37, 6, s33
	s_mov_b32 s20, 0
	s_movk_i32 s21, 0x1e0
	v_mov_b32_e32 v10, 2
	v_mov_b32_e32 v11, 1
	s_branch .LBB3_30
.LBB3_29:                               ;   in Loop: Header=BB3_30 Depth=1
	s_or_b64 exec, exec, s[6:7]
	v_sub_co_u32_e32 v28, vcc, v28, v38
	v_subb_co_u32_e32 v29, vcc, v29, v39, vcc
	v_cmp_eq_u64_e32 vcc, 0, v[28:29]
	v_add_u32_e32 v37, v37, v38
	s_or_b64 s[12:13], vcc, s[12:13]
	s_andn2_b64 exec, exec, s[12:13]
	s_cbranch_execz .LBB3_113
.LBB3_30:                               ; =>This Loop Header: Depth=1
                                        ;     Child Loop BB3_33 Depth 2
                                        ;     Child Loop BB3_41 Depth 2
	;; [unrolled: 1-line block ×11, first 2 shown]
	v_cmp_gt_u64_e32 vcc, 56, v[28:29]
	v_cmp_gt_u64_e64 s[4:5], 8, v[28:29]
	v_cndmask_b32_e32 v38, 56, v28, vcc
	v_add_u32_e32 v9, 8, v37
	s_and_saveexec_b64 s[6:7], s[4:5]
	s_xor_b64 s[6:7], exec, s[6:7]
	s_cbranch_execz .LBB3_36
; %bb.31:                               ;   in Loop: Header=BB3_30 Depth=1
	v_mov_b32_e32 v2, 0
	v_cmp_ne_u64_e64 s[4:5], 0, v[28:29]
	v_mov_b32_e32 v3, 0
	s_and_saveexec_b64 s[14:15], s[4:5]
	s_cbranch_execz .LBB3_35
; %bb.32:                               ;   in Loop: Header=BB3_30 Depth=1
	v_mov_b32_e32 v2, 0
	s_mov_b32 s22, 0
	s_mov_b64 s[16:17], 0
	v_mov_b32_e32 v3, 0
	s_mov_b64 s[18:19], 0
.LBB3_33:                               ;   Parent Loop BB3_30 Depth=1
                                        ; =>  This Inner Loop Header: Depth=2
	v_add_u32_e32 v8, s22, v37
	buffer_load_ubyte v8, v8, s[0:3], 0 offen
	v_mov_b32_e32 v9, s20
	s_add_i32 s22, s22, 1
	v_cmp_eq_u32_e64 s[4:5], s22, v38
	s_waitcnt vmcnt(0)
	v_and_b32_e32 v8, 0xffff, v8
	v_lshlrev_b64 v[8:9], s18, v[8:9]
	s_add_u32 s18, s18, 8
	s_addc_u32 s19, s19, 0
	v_or_b32_e32 v3, v9, v3
	s_or_b64 s[16:17], s[4:5], s[16:17]
	v_or_b32_e32 v2, v8, v2
	s_andn2_b64 exec, exec, s[16:17]
	s_cbranch_execnz .LBB3_33
; %bb.34:                               ;   in Loop: Header=BB3_30 Depth=1
	s_or_b64 exec, exec, s[16:17]
.LBB3_35:                               ;   in Loop: Header=BB3_30 Depth=1
	s_or_b64 exec, exec, s[14:15]
	v_mov_b32_e32 v9, v37
.LBB3_36:                               ;   in Loop: Header=BB3_30 Depth=1
	s_or_saveexec_b64 s[4:5], s[6:7]
	v_mov_b32_e32 v14, 0
	s_xor_b64 exec, exec, s[4:5]
	s_cbranch_execz .LBB3_38
; %bb.37:                               ;   in Loop: Header=BB3_30 Depth=1
	buffer_load_dword v2, v37, s[0:3], 0 offen
	buffer_load_dword v3, v37, s[0:3], 0 offen offset:4
	v_add_u32_e32 v14, -8, v38
.LBB3_38:                               ;   in Loop: Header=BB3_30 Depth=1
	s_or_b64 exec, exec, s[4:5]
	v_cmp_gt_u32_e64 s[4:5], 8, v14
	v_add_u32_e32 v8, 8, v9
                                        ; implicit-def: $vgpr12_vgpr13
	s_and_saveexec_b64 s[6:7], s[4:5]
	s_xor_b64 s[6:7], exec, s[6:7]
	s_cbranch_execz .LBB3_44
; %bb.39:                               ;   in Loop: Header=BB3_30 Depth=1
	v_mov_b32_e32 v12, 0
	v_mov_b32_e32 v13, 0
	v_cmp_ne_u32_e64 s[4:5], 0, v14
	s_and_saveexec_b64 s[14:15], s[4:5]
	s_cbranch_execz .LBB3_43
; %bb.40:                               ;   in Loop: Header=BB3_30 Depth=1
	v_mov_b32_e32 v12, 0
	s_mov_b32 s22, 0
	s_mov_b64 s[16:17], 0
	v_mov_b32_e32 v13, 0
	s_mov_b64 s[18:19], 0
.LBB3_41:                               ;   Parent Loop BB3_30 Depth=1
                                        ; =>  This Inner Loop Header: Depth=2
	v_add_u32_e32 v8, s22, v9
	buffer_load_ubyte v8, v8, s[0:3], 0 offen
	v_mov_b32_e32 v16, s20
	s_add_i32 s22, s22, 1
	v_cmp_eq_u32_e64 s[4:5], s22, v14
	s_waitcnt vmcnt(0)
	v_and_b32_e32 v15, 0xffff, v8
	v_lshlrev_b64 v[15:16], s18, v[15:16]
	s_add_u32 s18, s18, 8
	s_addc_u32 s19, s19, 0
	v_or_b32_e32 v13, v16, v13
	s_or_b64 s[16:17], s[4:5], s[16:17]
	v_or_b32_e32 v12, v15, v12
	s_andn2_b64 exec, exec, s[16:17]
	s_cbranch_execnz .LBB3_41
; %bb.42:                               ;   in Loop: Header=BB3_30 Depth=1
	s_or_b64 exec, exec, s[16:17]
.LBB3_43:                               ;   in Loop: Header=BB3_30 Depth=1
	s_or_b64 exec, exec, s[14:15]
	v_mov_b32_e32 v8, v9
                                        ; implicit-def: $vgpr14
.LBB3_44:                               ;   in Loop: Header=BB3_30 Depth=1
	s_or_saveexec_b64 s[4:5], s[6:7]
	v_mov_b32_e32 v16, 0
	s_xor_b64 exec, exec, s[4:5]
	s_cbranch_execz .LBB3_46
; %bb.45:                               ;   in Loop: Header=BB3_30 Depth=1
	buffer_load_dword v12, v9, s[0:3], 0 offen
	buffer_load_dword v13, v9, s[0:3], 0 offen offset:4
	v_add_u32_e32 v16, -8, v14
.LBB3_46:                               ;   in Loop: Header=BB3_30 Depth=1
	s_or_b64 exec, exec, s[4:5]
	v_cmp_gt_u32_e64 s[4:5], 8, v16
	v_add_u32_e32 v9, 8, v8
	s_and_saveexec_b64 s[6:7], s[4:5]
	s_xor_b64 s[6:7], exec, s[6:7]
	s_cbranch_execz .LBB3_52
; %bb.47:                               ;   in Loop: Header=BB3_30 Depth=1
	v_mov_b32_e32 v14, 0
	v_mov_b32_e32 v15, 0
	v_cmp_ne_u32_e64 s[4:5], 0, v16
	s_and_saveexec_b64 s[14:15], s[4:5]
	s_cbranch_execz .LBB3_51
; %bb.48:                               ;   in Loop: Header=BB3_30 Depth=1
	v_mov_b32_e32 v14, 0
	s_mov_b32 s22, 0
	s_mov_b64 s[16:17], 0
	v_mov_b32_e32 v15, 0
	s_mov_b64 s[18:19], 0
.LBB3_49:                               ;   Parent Loop BB3_30 Depth=1
                                        ; =>  This Inner Loop Header: Depth=2
	v_add_u32_e32 v9, s22, v8
	buffer_load_ubyte v9, v9, s[0:3], 0 offen
	v_mov_b32_e32 v18, s20
	s_add_i32 s22, s22, 1
	v_cmp_eq_u32_e64 s[4:5], s22, v16
	s_waitcnt vmcnt(0)
	v_and_b32_e32 v17, 0xffff, v9
	v_lshlrev_b64 v[17:18], s18, v[17:18]
	s_add_u32 s18, s18, 8
	s_addc_u32 s19, s19, 0
	v_or_b32_e32 v15, v18, v15
	s_or_b64 s[16:17], s[4:5], s[16:17]
	v_or_b32_e32 v14, v17, v14
	s_andn2_b64 exec, exec, s[16:17]
	s_cbranch_execnz .LBB3_49
; %bb.50:                               ;   in Loop: Header=BB3_30 Depth=1
	s_or_b64 exec, exec, s[16:17]
.LBB3_51:                               ;   in Loop: Header=BB3_30 Depth=1
	s_or_b64 exec, exec, s[14:15]
	v_mov_b32_e32 v9, v8
                                        ; implicit-def: $vgpr16
.LBB3_52:                               ;   in Loop: Header=BB3_30 Depth=1
	s_or_saveexec_b64 s[4:5], s[6:7]
	v_mov_b32_e32 v18, 0
	s_xor_b64 exec, exec, s[4:5]
	s_cbranch_execz .LBB3_54
; %bb.53:                               ;   in Loop: Header=BB3_30 Depth=1
	buffer_load_dword v14, v8, s[0:3], 0 offen
	buffer_load_dword v15, v8, s[0:3], 0 offen offset:4
	v_add_u32_e32 v18, -8, v16
.LBB3_54:                               ;   in Loop: Header=BB3_30 Depth=1
	s_or_b64 exec, exec, s[4:5]
	v_cmp_gt_u32_e64 s[4:5], 8, v18
	v_add_u32_e32 v8, 8, v9
                                        ; implicit-def: $vgpr16_vgpr17
	s_and_saveexec_b64 s[6:7], s[4:5]
	s_xor_b64 s[6:7], exec, s[6:7]
	s_cbranch_execz .LBB3_60
; %bb.55:                               ;   in Loop: Header=BB3_30 Depth=1
	v_mov_b32_e32 v16, 0
	v_mov_b32_e32 v17, 0
	v_cmp_ne_u32_e64 s[4:5], 0, v18
	s_and_saveexec_b64 s[14:15], s[4:5]
	s_cbranch_execz .LBB3_59
; %bb.56:                               ;   in Loop: Header=BB3_30 Depth=1
	v_mov_b32_e32 v16, 0
	s_mov_b32 s22, 0
	s_mov_b64 s[16:17], 0
	v_mov_b32_e32 v17, 0
	s_mov_b64 s[18:19], 0
.LBB3_57:                               ;   Parent Loop BB3_30 Depth=1
                                        ; =>  This Inner Loop Header: Depth=2
	v_add_u32_e32 v8, s22, v9
	buffer_load_ubyte v8, v8, s[0:3], 0 offen
	v_mov_b32_e32 v20, s20
	s_add_i32 s22, s22, 1
	v_cmp_eq_u32_e64 s[4:5], s22, v18
	s_waitcnt vmcnt(0)
	v_and_b32_e32 v19, 0xffff, v8
	v_lshlrev_b64 v[19:20], s18, v[19:20]
	s_add_u32 s18, s18, 8
	s_addc_u32 s19, s19, 0
	v_or_b32_e32 v17, v20, v17
	s_or_b64 s[16:17], s[4:5], s[16:17]
	v_or_b32_e32 v16, v19, v16
	s_andn2_b64 exec, exec, s[16:17]
	s_cbranch_execnz .LBB3_57
; %bb.58:                               ;   in Loop: Header=BB3_30 Depth=1
	s_or_b64 exec, exec, s[16:17]
.LBB3_59:                               ;   in Loop: Header=BB3_30 Depth=1
	s_or_b64 exec, exec, s[14:15]
	v_mov_b32_e32 v8, v9
                                        ; implicit-def: $vgpr18
.LBB3_60:                               ;   in Loop: Header=BB3_30 Depth=1
	s_or_saveexec_b64 s[4:5], s[6:7]
	v_mov_b32_e32 v20, 0
	s_xor_b64 exec, exec, s[4:5]
	s_cbranch_execz .LBB3_62
; %bb.61:                               ;   in Loop: Header=BB3_30 Depth=1
	buffer_load_dword v16, v9, s[0:3], 0 offen
	buffer_load_dword v17, v9, s[0:3], 0 offen offset:4
	v_add_u32_e32 v20, -8, v18
.LBB3_62:                               ;   in Loop: Header=BB3_30 Depth=1
	s_or_b64 exec, exec, s[4:5]
	v_cmp_gt_u32_e64 s[4:5], 8, v20
	v_add_u32_e32 v9, 8, v8
	s_and_saveexec_b64 s[6:7], s[4:5]
	s_xor_b64 s[6:7], exec, s[6:7]
	s_cbranch_execz .LBB3_68
; %bb.63:                               ;   in Loop: Header=BB3_30 Depth=1
	v_mov_b32_e32 v18, 0
	v_mov_b32_e32 v19, 0
	v_cmp_ne_u32_e64 s[4:5], 0, v20
	s_and_saveexec_b64 s[14:15], s[4:5]
	s_cbranch_execz .LBB3_67
; %bb.64:                               ;   in Loop: Header=BB3_30 Depth=1
	v_mov_b32_e32 v18, 0
	s_mov_b32 s22, 0
	s_mov_b64 s[16:17], 0
	v_mov_b32_e32 v19, 0
	s_mov_b64 s[18:19], 0
.LBB3_65:                               ;   Parent Loop BB3_30 Depth=1
                                        ; =>  This Inner Loop Header: Depth=2
	v_add_u32_e32 v9, s22, v8
	buffer_load_ubyte v9, v9, s[0:3], 0 offen
	v_mov_b32_e32 v22, s20
	s_add_i32 s22, s22, 1
	v_cmp_eq_u32_e64 s[4:5], s22, v20
	s_waitcnt vmcnt(0)
	v_and_b32_e32 v21, 0xffff, v9
	v_lshlrev_b64 v[21:22], s18, v[21:22]
	s_add_u32 s18, s18, 8
	s_addc_u32 s19, s19, 0
	v_or_b32_e32 v19, v22, v19
	s_or_b64 s[16:17], s[4:5], s[16:17]
	v_or_b32_e32 v18, v21, v18
	s_andn2_b64 exec, exec, s[16:17]
	s_cbranch_execnz .LBB3_65
; %bb.66:                               ;   in Loop: Header=BB3_30 Depth=1
	s_or_b64 exec, exec, s[16:17]
.LBB3_67:                               ;   in Loop: Header=BB3_30 Depth=1
	s_or_b64 exec, exec, s[14:15]
	v_mov_b32_e32 v9, v8
                                        ; implicit-def: $vgpr20
.LBB3_68:                               ;   in Loop: Header=BB3_30 Depth=1
	s_or_saveexec_b64 s[4:5], s[6:7]
	v_mov_b32_e32 v22, 0
	s_xor_b64 exec, exec, s[4:5]
	s_cbranch_execz .LBB3_70
; %bb.69:                               ;   in Loop: Header=BB3_30 Depth=1
	buffer_load_dword v18, v8, s[0:3], 0 offen
	buffer_load_dword v19, v8, s[0:3], 0 offen offset:4
	v_add_u32_e32 v22, -8, v20
.LBB3_70:                               ;   in Loop: Header=BB3_30 Depth=1
	s_or_b64 exec, exec, s[4:5]
	v_cmp_gt_u32_e64 s[4:5], 8, v22
	v_add_u32_e32 v8, 8, v9
                                        ; implicit-def: $vgpr20_vgpr21
	s_and_saveexec_b64 s[6:7], s[4:5]
	s_xor_b64 s[6:7], exec, s[6:7]
	s_cbranch_execz .LBB3_76
; %bb.71:                               ;   in Loop: Header=BB3_30 Depth=1
	v_mov_b32_e32 v20, 0
	v_mov_b32_e32 v21, 0
	v_cmp_ne_u32_e64 s[4:5], 0, v22
	s_and_saveexec_b64 s[14:15], s[4:5]
	s_cbranch_execz .LBB3_75
; %bb.72:                               ;   in Loop: Header=BB3_30 Depth=1
	v_mov_b32_e32 v20, 0
	s_mov_b32 s22, 0
	s_mov_b64 s[16:17], 0
	v_mov_b32_e32 v21, 0
	s_mov_b64 s[18:19], 0
.LBB3_73:                               ;   Parent Loop BB3_30 Depth=1
                                        ; =>  This Inner Loop Header: Depth=2
	v_add_u32_e32 v8, s22, v9
	buffer_load_ubyte v8, v8, s[0:3], 0 offen
	v_mov_b32_e32 v24, s20
	s_add_i32 s22, s22, 1
	v_cmp_eq_u32_e64 s[4:5], s22, v22
	s_waitcnt vmcnt(0)
	v_and_b32_e32 v23, 0xffff, v8
	v_lshlrev_b64 v[23:24], s18, v[23:24]
	s_add_u32 s18, s18, 8
	s_addc_u32 s19, s19, 0
	v_or_b32_e32 v21, v24, v21
	s_or_b64 s[16:17], s[4:5], s[16:17]
	v_or_b32_e32 v20, v23, v20
	s_andn2_b64 exec, exec, s[16:17]
	s_cbranch_execnz .LBB3_73
; %bb.74:                               ;   in Loop: Header=BB3_30 Depth=1
	s_or_b64 exec, exec, s[16:17]
.LBB3_75:                               ;   in Loop: Header=BB3_30 Depth=1
	s_or_b64 exec, exec, s[14:15]
	v_mov_b32_e32 v8, v9
                                        ; implicit-def: $vgpr22
.LBB3_76:                               ;   in Loop: Header=BB3_30 Depth=1
	s_or_saveexec_b64 s[4:5], s[6:7]
	v_mov_b32_e32 v24, 0
	s_xor_b64 exec, exec, s[4:5]
	s_cbranch_execz .LBB3_78
; %bb.77:                               ;   in Loop: Header=BB3_30 Depth=1
	buffer_load_dword v20, v9, s[0:3], 0 offen
	buffer_load_dword v21, v9, s[0:3], 0 offen offset:4
	v_add_u32_e32 v24, -8, v22
.LBB3_78:                               ;   in Loop: Header=BB3_30 Depth=1
	s_or_b64 exec, exec, s[4:5]
	v_cmp_gt_u32_e64 s[4:5], 8, v24
	s_and_saveexec_b64 s[6:7], s[4:5]
	s_xor_b64 s[6:7], exec, s[6:7]
	s_cbranch_execz .LBB3_84
; %bb.79:                               ;   in Loop: Header=BB3_30 Depth=1
	v_mov_b32_e32 v22, 0
	v_mov_b32_e32 v23, 0
	v_cmp_ne_u32_e64 s[4:5], 0, v24
	s_and_saveexec_b64 s[14:15], s[4:5]
	s_cbranch_execz .LBB3_83
; %bb.80:                               ;   in Loop: Header=BB3_30 Depth=1
	v_mov_b32_e32 v22, 0
	s_mov_b64 s[16:17], 0
	v_mov_b32_e32 v23, 0
	s_mov_b64 s[18:19], 0
.LBB3_81:                               ;   Parent Loop BB3_30 Depth=1
                                        ; =>  This Inner Loop Header: Depth=2
	buffer_load_ubyte v9, v8, s[0:3], 0 offen
	v_mov_b32_e32 v26, s20
	v_add_u32_e32 v24, -1, v24
	v_cmp_eq_u32_e64 s[4:5], 0, v24
	v_add_u32_e32 v8, 1, v8
	s_waitcnt vmcnt(0)
	v_and_b32_e32 v25, 0xffff, v9
	v_lshlrev_b64 v[25:26], s18, v[25:26]
	s_add_u32 s18, s18, 8
	s_addc_u32 s19, s19, 0
	v_or_b32_e32 v23, v26, v23
	s_or_b64 s[16:17], s[4:5], s[16:17]
	v_or_b32_e32 v22, v25, v22
	s_andn2_b64 exec, exec, s[16:17]
	s_cbranch_execnz .LBB3_81
; %bb.82:                               ;   in Loop: Header=BB3_30 Depth=1
	s_or_b64 exec, exec, s[16:17]
.LBB3_83:                               ;   in Loop: Header=BB3_30 Depth=1
	s_or_b64 exec, exec, s[14:15]
                                        ; implicit-def: $vgpr8
.LBB3_84:                               ;   in Loop: Header=BB3_30 Depth=1
	s_andn2_saveexec_b64 s[4:5], s[6:7]
	s_cbranch_execz .LBB3_86
; %bb.85:                               ;   in Loop: Header=BB3_30 Depth=1
	buffer_load_dword v22, v8, s[0:3], 0 offen
	buffer_load_dword v23, v8, s[0:3], 0 offen offset:4
.LBB3_86:                               ;   in Loop: Header=BB3_30 Depth=1
	s_or_b64 exec, exec, s[4:5]
	v_readfirstlane_b32 s4, v34
	v_mov_b32_e32 v8, 0
	v_mov_b32_e32 v9, 0
	v_cmp_eq_u32_e64 s[4:5], s4, v34
	s_and_saveexec_b64 s[14:15], s[4:5]
	s_cbranch_execz .LBB3_92
; %bb.87:                               ;   in Loop: Header=BB3_30 Depth=1
	global_load_dwordx2 v[26:27], v31, s[10:11] offset:24 glc
	s_waitcnt vmcnt(0)
	buffer_wbinvl1_vol
	global_load_dwordx2 v[8:9], v31, s[10:11] offset:40
	global_load_dwordx2 v[24:25], v31, s[10:11]
	s_waitcnt vmcnt(1)
	v_and_b32_e32 v8, v8, v26
	v_and_b32_e32 v9, v9, v27
	v_mul_lo_u32 v9, v9, 24
	v_mul_hi_u32 v30, v8, 24
	v_mul_lo_u32 v8, v8, 24
	v_add_u32_e32 v9, v30, v9
	s_waitcnt vmcnt(0)
	v_add_co_u32_e64 v8, s[6:7], v24, v8
	v_addc_co_u32_e64 v9, s[6:7], v25, v9, s[6:7]
	global_load_dwordx2 v[24:25], v[8:9], off glc
	s_waitcnt vmcnt(0)
	global_atomic_cmpswap_x2 v[8:9], v31, v[24:27], s[10:11] offset:24 glc
	s_waitcnt vmcnt(0)
	buffer_wbinvl1_vol
	v_cmp_ne_u64_e64 s[6:7], v[8:9], v[26:27]
	s_and_saveexec_b64 s[16:17], s[6:7]
	s_cbranch_execz .LBB3_91
; %bb.88:                               ;   in Loop: Header=BB3_30 Depth=1
	s_mov_b64 s[18:19], 0
.LBB3_89:                               ;   Parent Loop BB3_30 Depth=1
                                        ; =>  This Inner Loop Header: Depth=2
	s_sleep 1
	global_load_dwordx2 v[24:25], v31, s[10:11] offset:40
	global_load_dwordx2 v[32:33], v31, s[10:11]
	v_mov_b32_e32 v27, v9
	v_mov_b32_e32 v26, v8
	s_waitcnt vmcnt(1)
	v_and_b32_e32 v8, v24, v26
	s_waitcnt vmcnt(0)
	v_mad_u64_u32 v[8:9], s[6:7], v8, 24, v[32:33]
	v_and_b32_e32 v24, v25, v27
	v_mad_u64_u32 v[24:25], s[6:7], v24, 24, v[9:10]
	v_mov_b32_e32 v9, v24
	global_load_dwordx2 v[24:25], v[8:9], off glc
	s_waitcnt vmcnt(0)
	global_atomic_cmpswap_x2 v[8:9], v31, v[24:27], s[10:11] offset:24 glc
	s_waitcnt vmcnt(0)
	buffer_wbinvl1_vol
	v_cmp_eq_u64_e64 s[6:7], v[8:9], v[26:27]
	s_or_b64 s[18:19], s[6:7], s[18:19]
	s_andn2_b64 exec, exec, s[18:19]
	s_cbranch_execnz .LBB3_89
; %bb.90:                               ;   in Loop: Header=BB3_30 Depth=1
	s_or_b64 exec, exec, s[18:19]
.LBB3_91:                               ;   in Loop: Header=BB3_30 Depth=1
	s_or_b64 exec, exec, s[16:17]
.LBB3_92:                               ;   in Loop: Header=BB3_30 Depth=1
	s_or_b64 exec, exec, s[14:15]
	global_load_dwordx2 v[32:33], v31, s[10:11] offset:40
	global_load_dwordx4 v[24:27], v31, s[10:11]
	v_readfirstlane_b32 s15, v9
	v_readfirstlane_b32 s14, v8
	s_mov_b64 s[16:17], exec
	s_waitcnt vmcnt(1)
	v_readfirstlane_b32 s6, v32
	v_readfirstlane_b32 s7, v33
	s_and_b64 s[18:19], s[6:7], s[14:15]
	s_mul_i32 s6, s19, 24
	s_mul_hi_u32 s7, s18, 24
	s_mul_i32 s22, s18, 24
	s_add_i32 s6, s7, s6
	v_mov_b32_e32 v8, s6
	s_waitcnt vmcnt(0)
	v_add_co_u32_e64 v32, s[6:7], s22, v24
	v_addc_co_u32_e64 v33, s[6:7], v25, v8, s[6:7]
	s_and_saveexec_b64 s[6:7], s[4:5]
	s_cbranch_execz .LBB3_94
; %bb.93:                               ;   in Loop: Header=BB3_30 Depth=1
	v_mov_b32_e32 v8, s16
	v_mov_b32_e32 v9, s17
	global_store_dwordx4 v[32:33], v[8:11], off offset:8
.LBB3_94:                               ;   in Loop: Header=BB3_30 Depth=1
	s_or_b64 exec, exec, s[6:7]
	s_lshl_b64 s[6:7], s[18:19], 12
	v_cndmask_b32_e32 v39, 0, v29, vcc
	v_mov_b32_e32 v8, s7
	v_add_co_u32_e32 v26, vcc, s6, v26
	v_addc_co_u32_e32 v27, vcc, v27, v8, vcc
	v_cmp_gt_u64_e32 vcc, 57, v[28:29]
	v_and_b32_e32 v0, 0xffffff1f, v0
	v_cndmask_b32_e32 v8, 0, v36, vcc
	v_lshl_add_u32 v9, v38, 2, 28
	v_or_b32_e32 v0, v0, v8
	v_and_or_b32 v0, v9, s21, v0
	v_readfirstlane_b32 s6, v26
	v_readfirstlane_b32 s7, v27
	s_nop 4
	global_store_dwordx4 v35, v[0:3], s[6:7]
	global_store_dwordx4 v35, v[12:15], s[6:7] offset:16
	global_store_dwordx4 v35, v[16:19], s[6:7] offset:32
	;; [unrolled: 1-line block ×3, first 2 shown]
	s_and_saveexec_b64 s[6:7], s[4:5]
	s_cbranch_execz .LBB3_102
; %bb.95:                               ;   in Loop: Header=BB3_30 Depth=1
	global_load_dwordx2 v[14:15], v31, s[10:11] offset:32 glc
	global_load_dwordx2 v[0:1], v31, s[10:11] offset:40
	v_mov_b32_e32 v12, s14
	v_mov_b32_e32 v13, s15
	s_waitcnt vmcnt(0)
	v_readfirstlane_b32 s16, v0
	v_readfirstlane_b32 s17, v1
	s_and_b64 s[16:17], s[16:17], s[14:15]
	s_mul_i32 s17, s17, 24
	s_mul_hi_u32 s18, s16, 24
	s_mul_i32 s16, s16, 24
	s_add_i32 s17, s18, s17
	v_mov_b32_e32 v0, s17
	v_add_co_u32_e32 v8, vcc, s16, v24
	v_addc_co_u32_e32 v9, vcc, v25, v0, vcc
	global_store_dwordx2 v[8:9], v[14:15], off
	s_waitcnt vmcnt(0)
	global_atomic_cmpswap_x2 v[2:3], v31, v[12:15], s[10:11] offset:32 glc
	s_waitcnt vmcnt(0)
	v_cmp_ne_u64_e32 vcc, v[2:3], v[14:15]
	s_and_saveexec_b64 s[16:17], vcc
	s_cbranch_execz .LBB3_98
; %bb.96:                               ;   in Loop: Header=BB3_30 Depth=1
	s_mov_b64 s[18:19], 0
.LBB3_97:                               ;   Parent Loop BB3_30 Depth=1
                                        ; =>  This Inner Loop Header: Depth=2
	s_sleep 1
	global_store_dwordx2 v[8:9], v[2:3], off
	v_mov_b32_e32 v0, s14
	v_mov_b32_e32 v1, s15
	s_waitcnt vmcnt(0)
	global_atomic_cmpswap_x2 v[0:1], v31, v[0:3], s[10:11] offset:32 glc
	s_waitcnt vmcnt(0)
	v_cmp_eq_u64_e32 vcc, v[0:1], v[2:3]
	v_mov_b32_e32 v3, v1
	s_or_b64 s[18:19], vcc, s[18:19]
	v_mov_b32_e32 v2, v0
	s_andn2_b64 exec, exec, s[18:19]
	s_cbranch_execnz .LBB3_97
.LBB3_98:                               ;   in Loop: Header=BB3_30 Depth=1
	s_or_b64 exec, exec, s[16:17]
	global_load_dwordx2 v[0:1], v31, s[10:11] offset:16
	s_mov_b64 s[18:19], exec
	v_mbcnt_lo_u32_b32 v2, s18, 0
	v_mbcnt_hi_u32_b32 v2, s19, v2
	v_cmp_eq_u32_e32 vcc, 0, v2
	s_and_saveexec_b64 s[16:17], vcc
	s_cbranch_execz .LBB3_100
; %bb.99:                               ;   in Loop: Header=BB3_30 Depth=1
	s_bcnt1_i32_b64 s18, s[18:19]
	v_mov_b32_e32 v30, s18
	s_waitcnt vmcnt(0)
	global_atomic_add_x2 v[0:1], v[30:31], off offset:8
.LBB3_100:                              ;   in Loop: Header=BB3_30 Depth=1
	s_or_b64 exec, exec, s[16:17]
	s_waitcnt vmcnt(0)
	global_load_dwordx2 v[2:3], v[0:1], off offset:16
	s_waitcnt vmcnt(0)
	v_cmp_eq_u64_e32 vcc, 0, v[2:3]
	s_cbranch_vccnz .LBB3_102
; %bb.101:                              ;   in Loop: Header=BB3_30 Depth=1
	global_load_dword v30, v[0:1], off offset:24
	s_waitcnt vmcnt(0)
	v_readfirstlane_b32 s16, v30
	s_and_b32 m0, s16, 0xffffff
	global_store_dwordx2 v[2:3], v[30:31], off
	s_sendmsg sendmsg(MSG_INTERRUPT)
.LBB3_102:                              ;   in Loop: Header=BB3_30 Depth=1
	s_or_b64 exec, exec, s[6:7]
	v_add_co_u32_e32 v0, vcc, v26, v35
	v_addc_co_u32_e32 v1, vcc, 0, v27, vcc
	s_branch .LBB3_106
.LBB3_103:                              ;   in Loop: Header=BB3_106 Depth=2
	s_or_b64 exec, exec, s[6:7]
	v_readfirstlane_b32 s6, v2
	s_cmp_eq_u32 s6, 0
	s_cbranch_scc1 .LBB3_105
; %bb.104:                              ;   in Loop: Header=BB3_106 Depth=2
	s_sleep 1
	s_cbranch_execnz .LBB3_106
	s_branch .LBB3_108
.LBB3_105:                              ;   in Loop: Header=BB3_30 Depth=1
	s_branch .LBB3_108
.LBB3_106:                              ;   Parent Loop BB3_30 Depth=1
                                        ; =>  This Inner Loop Header: Depth=2
	v_mov_b32_e32 v2, 1
	s_and_saveexec_b64 s[6:7], s[4:5]
	s_cbranch_execz .LBB3_103
; %bb.107:                              ;   in Loop: Header=BB3_106 Depth=2
	global_load_dword v2, v[32:33], off offset:20 glc
	s_waitcnt vmcnt(0)
	buffer_wbinvl1_vol
	v_and_b32_e32 v2, 1, v2
	s_branch .LBB3_103
.LBB3_108:                              ;   in Loop: Header=BB3_30 Depth=1
	global_load_dwordx2 v[0:1], v[0:1], off
	s_and_saveexec_b64 s[6:7], s[4:5]
	s_cbranch_execz .LBB3_29
; %bb.109:                              ;   in Loop: Header=BB3_30 Depth=1
	global_load_dwordx2 v[2:3], v31, s[10:11] offset:40
	global_load_dwordx2 v[16:17], v31, s[10:11] offset:24 glc
	global_load_dwordx2 v[8:9], v31, s[10:11]
	s_waitcnt vmcnt(2)
	v_readfirstlane_b32 s16, v2
	v_readfirstlane_b32 s17, v3
	s_add_u32 s18, s16, 1
	s_addc_u32 s19, s17, 0
	s_add_u32 s4, s18, s14
	s_addc_u32 s5, s19, s15
	s_cmp_eq_u64 s[4:5], 0
	s_cselect_b32 s5, s19, s5
	s_cselect_b32 s4, s18, s4
	s_and_b64 s[14:15], s[4:5], s[16:17]
	s_mul_i32 s15, s15, 24
	s_mul_hi_u32 s16, s14, 24
	s_mul_i32 s14, s14, 24
	s_add_i32 s15, s16, s15
	v_mov_b32_e32 v3, s15
	s_waitcnt vmcnt(0)
	v_add_co_u32_e32 v2, vcc, s14, v8
	v_addc_co_u32_e32 v3, vcc, v9, v3, vcc
	v_mov_b32_e32 v14, s4
	global_store_dwordx2 v[2:3], v[16:17], off
	v_mov_b32_e32 v15, s5
	s_waitcnt vmcnt(0)
	global_atomic_cmpswap_x2 v[14:15], v31, v[14:17], s[10:11] offset:24 glc
	s_waitcnt vmcnt(0)
	v_cmp_ne_u64_e32 vcc, v[14:15], v[16:17]
	s_and_b64 exec, exec, vcc
	s_cbranch_execz .LBB3_29
; %bb.110:                              ;   in Loop: Header=BB3_30 Depth=1
	s_mov_b64 s[14:15], 0
.LBB3_111:                              ;   Parent Loop BB3_30 Depth=1
                                        ; =>  This Inner Loop Header: Depth=2
	s_sleep 1
	global_store_dwordx2 v[2:3], v[14:15], off
	v_mov_b32_e32 v12, s4
	v_mov_b32_e32 v13, s5
	s_waitcnt vmcnt(0)
	global_atomic_cmpswap_x2 v[8:9], v31, v[12:15], s[10:11] offset:24 glc
	s_waitcnt vmcnt(0)
	v_cmp_eq_u64_e32 vcc, v[8:9], v[14:15]
	v_mov_b32_e32 v15, v9
	s_or_b64 s[14:15], vcc, s[14:15]
	v_mov_b32_e32 v14, v8
	s_andn2_b64 exec, exec, s[14:15]
	s_cbranch_execnz .LBB3_111
	s_branch .LBB3_29
.LBB3_112:
                                        ; implicit-def: $vgpr0_vgpr1
	s_cbranch_execnz .LBB3_114
	s_branch .LBB3_140
.LBB3_113:
	s_or_b64 exec, exec, s[12:13]
	s_branch .LBB3_140
.LBB3_114:
	v_readfirstlane_b32 s4, v34
	v_mov_b32_e32 v9, 0
	v_mov_b32_e32 v10, 0
	v_cmp_eq_u32_e64 s[4:5], s4, v34
	s_and_saveexec_b64 s[6:7], s[4:5]
	s_cbranch_execz .LBB3_120
; %bb.115:
	s_waitcnt vmcnt(0)
	v_mov_b32_e32 v0, 0
	global_load_dwordx2 v[11:12], v0, s[10:11] offset:24 glc
	s_waitcnt vmcnt(0)
	buffer_wbinvl1_vol
	global_load_dwordx2 v[1:2], v0, s[10:11] offset:40
	global_load_dwordx2 v[8:9], v0, s[10:11]
	s_waitcnt vmcnt(1)
	v_and_b32_e32 v1, v1, v11
	v_and_b32_e32 v2, v2, v12
	v_mul_lo_u32 v2, v2, 24
	v_mul_hi_u32 v3, v1, 24
	v_mul_lo_u32 v1, v1, 24
	v_add_u32_e32 v2, v3, v2
	s_waitcnt vmcnt(0)
	v_add_co_u32_e32 v1, vcc, v8, v1
	v_addc_co_u32_e32 v2, vcc, v9, v2, vcc
	global_load_dwordx2 v[9:10], v[1:2], off glc
	s_waitcnt vmcnt(0)
	global_atomic_cmpswap_x2 v[9:10], v0, v[9:12], s[10:11] offset:24 glc
	s_waitcnt vmcnt(0)
	buffer_wbinvl1_vol
	v_cmp_ne_u64_e32 vcc, v[9:10], v[11:12]
	s_and_saveexec_b64 s[12:13], vcc
	s_cbranch_execz .LBB3_119
; %bb.116:
	s_mov_b64 s[14:15], 0
.LBB3_117:                              ; =>This Inner Loop Header: Depth=1
	s_sleep 1
	global_load_dwordx2 v[1:2], v0, s[10:11] offset:40
	global_load_dwordx2 v[13:14], v0, s[10:11]
	v_mov_b32_e32 v12, v10
	v_mov_b32_e32 v11, v9
	s_waitcnt vmcnt(1)
	v_and_b32_e32 v1, v1, v11
	s_waitcnt vmcnt(0)
	v_mad_u64_u32 v[8:9], s[16:17], v1, 24, v[13:14]
	v_and_b32_e32 v2, v2, v12
	v_mov_b32_e32 v1, v9
	v_mad_u64_u32 v[1:2], s[16:17], v2, 24, v[1:2]
	v_mov_b32_e32 v9, v1
	global_load_dwordx2 v[9:10], v[8:9], off glc
	s_waitcnt vmcnt(0)
	global_atomic_cmpswap_x2 v[9:10], v0, v[9:12], s[10:11] offset:24 glc
	s_waitcnt vmcnt(0)
	buffer_wbinvl1_vol
	v_cmp_eq_u64_e32 vcc, v[9:10], v[11:12]
	s_or_b64 s[14:15], vcc, s[14:15]
	s_andn2_b64 exec, exec, s[14:15]
	s_cbranch_execnz .LBB3_117
; %bb.118:
	s_or_b64 exec, exec, s[14:15]
.LBB3_119:
	s_or_b64 exec, exec, s[12:13]
.LBB3_120:
	s_or_b64 exec, exec, s[6:7]
	v_mov_b32_e32 v8, 0
	global_load_dwordx2 v[11:12], v8, s[10:11] offset:40
	global_load_dwordx4 v[0:3], v8, s[10:11]
	v_readfirstlane_b32 s7, v10
	v_readfirstlane_b32 s6, v9
	s_mov_b64 s[12:13], exec
	s_waitcnt vmcnt(1)
	v_readfirstlane_b32 s14, v11
	v_readfirstlane_b32 s15, v12
	s_and_b64 s[14:15], s[14:15], s[6:7]
	s_mul_i32 s16, s15, 24
	s_mul_hi_u32 s17, s14, 24
	s_mul_i32 s18, s14, 24
	s_add_i32 s16, s17, s16
	v_mov_b32_e32 v9, s16
	s_waitcnt vmcnt(0)
	v_add_co_u32_e32 v10, vcc, s18, v0
	v_addc_co_u32_e32 v11, vcc, v1, v9, vcc
	s_and_saveexec_b64 s[16:17], s[4:5]
	s_cbranch_execz .LBB3_122
; %bb.121:
	v_mov_b32_e32 v12, s12
	v_mov_b32_e32 v13, s13
	;; [unrolled: 1-line block ×4, first 2 shown]
	global_store_dwordx4 v[10:11], v[12:15], off offset:8
.LBB3_122:
	s_or_b64 exec, exec, s[16:17]
	s_lshl_b64 s[12:13], s[14:15], 12
	v_mov_b32_e32 v9, s13
	v_add_co_u32_e32 v2, vcc, s12, v2
	v_addc_co_u32_e32 v3, vcc, v3, v9, vcc
	s_movk_i32 s12, 0xff1f
	v_and_or_b32 v6, v6, s12, 32
	s_mov_b32 s12, 0
	v_mov_b32_e32 v9, v8
	v_readfirstlane_b32 s16, v2
	v_readfirstlane_b32 s17, v3
	v_add_co_u32_e32 v12, vcc, v2, v35
	s_mov_b32 s13, s12
	s_mov_b32 s14, s12
	;; [unrolled: 1-line block ×3, first 2 shown]
	s_nop 0
	global_store_dwordx4 v35, v[6:9], s[16:17]
	v_addc_co_u32_e32 v13, vcc, 0, v3, vcc
	v_mov_b32_e32 v6, s12
	v_mov_b32_e32 v7, s13
	;; [unrolled: 1-line block ×4, first 2 shown]
	global_store_dwordx4 v35, v[6:9], s[16:17] offset:16
	global_store_dwordx4 v35, v[6:9], s[16:17] offset:32
	;; [unrolled: 1-line block ×3, first 2 shown]
	s_and_saveexec_b64 s[12:13], s[4:5]
	s_cbranch_execz .LBB3_130
; %bb.123:
	v_mov_b32_e32 v8, 0
	global_load_dwordx2 v[16:17], v8, s[10:11] offset:32 glc
	global_load_dwordx2 v[2:3], v8, s[10:11] offset:40
	v_mov_b32_e32 v14, s6
	v_mov_b32_e32 v15, s7
	s_waitcnt vmcnt(0)
	v_readfirstlane_b32 s14, v2
	v_readfirstlane_b32 s15, v3
	s_and_b64 s[14:15], s[14:15], s[6:7]
	s_mul_i32 s15, s15, 24
	s_mul_hi_u32 s16, s14, 24
	s_mul_i32 s14, s14, 24
	s_add_i32 s15, s16, s15
	v_mov_b32_e32 v2, s15
	v_add_co_u32_e32 v6, vcc, s14, v0
	v_addc_co_u32_e32 v7, vcc, v1, v2, vcc
	global_store_dwordx2 v[6:7], v[16:17], off
	s_waitcnt vmcnt(0)
	global_atomic_cmpswap_x2 v[2:3], v8, v[14:17], s[10:11] offset:32 glc
	s_waitcnt vmcnt(0)
	v_cmp_ne_u64_e32 vcc, v[2:3], v[16:17]
	s_and_saveexec_b64 s[14:15], vcc
	s_cbranch_execz .LBB3_126
; %bb.124:
	s_mov_b64 s[16:17], 0
.LBB3_125:                              ; =>This Inner Loop Header: Depth=1
	s_sleep 1
	global_store_dwordx2 v[6:7], v[2:3], off
	v_mov_b32_e32 v0, s6
	v_mov_b32_e32 v1, s7
	s_waitcnt vmcnt(0)
	global_atomic_cmpswap_x2 v[0:1], v8, v[0:3], s[10:11] offset:32 glc
	s_waitcnt vmcnt(0)
	v_cmp_eq_u64_e32 vcc, v[0:1], v[2:3]
	v_mov_b32_e32 v3, v1
	s_or_b64 s[16:17], vcc, s[16:17]
	v_mov_b32_e32 v2, v0
	s_andn2_b64 exec, exec, s[16:17]
	s_cbranch_execnz .LBB3_125
.LBB3_126:
	s_or_b64 exec, exec, s[14:15]
	v_mov_b32_e32 v3, 0
	global_load_dwordx2 v[0:1], v3, s[10:11] offset:16
	s_mov_b64 s[14:15], exec
	v_mbcnt_lo_u32_b32 v2, s14, 0
	v_mbcnt_hi_u32_b32 v2, s15, v2
	v_cmp_eq_u32_e32 vcc, 0, v2
	s_and_saveexec_b64 s[16:17], vcc
	s_cbranch_execz .LBB3_128
; %bb.127:
	s_bcnt1_i32_b64 s14, s[14:15]
	v_mov_b32_e32 v2, s14
	s_waitcnt vmcnt(0)
	global_atomic_add_x2 v[0:1], v[2:3], off offset:8
.LBB3_128:
	s_or_b64 exec, exec, s[16:17]
	s_waitcnt vmcnt(0)
	global_load_dwordx2 v[2:3], v[0:1], off offset:16
	s_waitcnt vmcnt(0)
	v_cmp_eq_u64_e32 vcc, 0, v[2:3]
	s_cbranch_vccnz .LBB3_130
; %bb.129:
	global_load_dword v0, v[0:1], off offset:24
	v_mov_b32_e32 v1, 0
	s_waitcnt vmcnt(0)
	v_readfirstlane_b32 s14, v0
	s_and_b32 m0, s14, 0xffffff
	global_store_dwordx2 v[2:3], v[0:1], off
	s_sendmsg sendmsg(MSG_INTERRUPT)
.LBB3_130:
	s_or_b64 exec, exec, s[12:13]
	s_branch .LBB3_134
.LBB3_131:                              ;   in Loop: Header=BB3_134 Depth=1
	s_or_b64 exec, exec, s[12:13]
	v_readfirstlane_b32 s12, v0
	s_cmp_eq_u32 s12, 0
	s_cbranch_scc1 .LBB3_133
; %bb.132:                              ;   in Loop: Header=BB3_134 Depth=1
	s_sleep 1
	s_cbranch_execnz .LBB3_134
	s_branch .LBB3_136
.LBB3_133:
	s_branch .LBB3_136
.LBB3_134:                              ; =>This Inner Loop Header: Depth=1
	v_mov_b32_e32 v0, 1
	s_and_saveexec_b64 s[12:13], s[4:5]
	s_cbranch_execz .LBB3_131
; %bb.135:                              ;   in Loop: Header=BB3_134 Depth=1
	global_load_dword v0, v[10:11], off offset:20 glc
	s_waitcnt vmcnt(0)
	buffer_wbinvl1_vol
	v_and_b32_e32 v0, 1, v0
	s_branch .LBB3_131
.LBB3_136:
	global_load_dwordx2 v[0:1], v[12:13], off
	s_and_saveexec_b64 s[12:13], s[4:5]
	s_cbranch_execz .LBB3_139
; %bb.137:
	v_mov_b32_e32 v10, 0
	global_load_dwordx2 v[2:3], v10, s[10:11] offset:40
	global_load_dwordx2 v[13:14], v10, s[10:11] offset:24 glc
	global_load_dwordx2 v[6:7], v10, s[10:11]
	s_waitcnt vmcnt(2)
	v_readfirstlane_b32 s14, v2
	v_readfirstlane_b32 s15, v3
	s_add_u32 s16, s14, 1
	s_addc_u32 s17, s15, 0
	s_add_u32 s4, s16, s6
	s_addc_u32 s5, s17, s7
	s_cmp_eq_u64 s[4:5], 0
	s_cselect_b32 s5, s17, s5
	s_cselect_b32 s4, s16, s4
	s_and_b64 s[6:7], s[4:5], s[14:15]
	s_mul_i32 s7, s7, 24
	s_mul_hi_u32 s14, s6, 24
	s_mul_i32 s6, s6, 24
	s_add_i32 s7, s14, s7
	v_mov_b32_e32 v3, s7
	s_waitcnt vmcnt(0)
	v_add_co_u32_e32 v2, vcc, s6, v6
	v_addc_co_u32_e32 v3, vcc, v7, v3, vcc
	v_mov_b32_e32 v11, s4
	global_store_dwordx2 v[2:3], v[13:14], off
	v_mov_b32_e32 v12, s5
	s_waitcnt vmcnt(0)
	global_atomic_cmpswap_x2 v[8:9], v10, v[11:14], s[10:11] offset:24 glc
	s_mov_b64 s[6:7], 0
	s_waitcnt vmcnt(0)
	v_cmp_ne_u64_e32 vcc, v[8:9], v[13:14]
	s_and_b64 exec, exec, vcc
	s_cbranch_execz .LBB3_139
.LBB3_138:                              ; =>This Inner Loop Header: Depth=1
	s_sleep 1
	global_store_dwordx2 v[2:3], v[8:9], off
	v_mov_b32_e32 v6, s4
	v_mov_b32_e32 v7, s5
	s_waitcnt vmcnt(0)
	global_atomic_cmpswap_x2 v[6:7], v10, v[6:9], s[10:11] offset:24 glc
	s_waitcnt vmcnt(0)
	v_cmp_eq_u64_e32 vcc, v[6:7], v[8:9]
	v_mov_b32_e32 v9, v7
	s_or_b64 s[6:7], vcc, s[6:7]
	v_mov_b32_e32 v8, v6
	s_andn2_b64 exec, exec, s[6:7]
	s_cbranch_execnz .LBB3_138
.LBB3_139:
	s_or_b64 exec, exec, s[12:13]
.LBB3_140:
	s_getpc_b64 s[6:7]
	s_add_u32 s6, s6, .str.5@rel32@lo+4
	s_addc_u32 s7, s7, .str.5@rel32@hi+12
	s_cmp_lg_u64 s[6:7], 0
	s_cbranch_scc0 .LBB3_225
; %bb.141:
	s_getpc_b64 s[4:5]
	s_add_u32 s4, s4, .str.5@rel32@lo+80
	s_addc_u32 s5, s5, .str.5@rel32@hi+88
	s_sub_i32 s12, s4, s6
	s_ashr_i32 s13, s12, 31
	s_waitcnt vmcnt(0)
	v_and_b32_e32 v32, 2, v0
	v_mov_b32_e32 v3, 0
	v_and_b32_e32 v6, -3, v0
	v_mov_b32_e32 v7, v1
	v_mov_b32_e32 v12, 2
	;; [unrolled: 1-line block ×3, first 2 shown]
	s_branch .LBB3_143
.LBB3_142:                              ;   in Loop: Header=BB3_143 Depth=1
	s_or_b64 exec, exec, s[18:19]
	s_sub_u32 s12, s12, s14
	s_subb_u32 s13, s13, s15
	s_add_u32 s6, s6, s14
	s_addc_u32 s7, s7, s15
	s_cmp_lg_u64 s[12:13], 0
	s_cbranch_scc0 .LBB3_226
.LBB3_143:                              ; =>This Loop Header: Depth=1
                                        ;     Child Loop BB3_146 Depth 2
                                        ;     Child Loop BB3_154 Depth 2
	;; [unrolled: 1-line block ×11, first 2 shown]
	v_cmp_lt_u64_e64 s[4:5], s[12:13], 56
	v_cmp_gt_u64_e64 s[16:17], s[12:13], 7
	s_and_b64 s[4:5], s[4:5], exec
	s_cselect_b32 s15, s13, 0
	s_cselect_b32 s14, s12, 56
	s_add_u32 s4, s6, 8
	s_addc_u32 s5, s7, 0
	s_and_b64 vcc, exec, s[16:17]
	s_cbranch_vccnz .LBB3_147
; %bb.144:                              ;   in Loop: Header=BB3_143 Depth=1
	s_cmp_eq_u64 s[12:13], 0
	s_cbranch_scc1 .LBB3_148
; %bb.145:                              ;   in Loop: Header=BB3_143 Depth=1
	v_mov_b32_e32 v8, 0
	s_lshl_b64 s[4:5], s[14:15], 3
	s_mov_b64 s[16:17], 0
	v_mov_b32_e32 v9, 0
	s_mov_b64 s[18:19], s[6:7]
.LBB3_146:                              ;   Parent Loop BB3_143 Depth=1
                                        ; =>  This Inner Loop Header: Depth=2
	global_load_ubyte v2, v3, s[18:19]
	s_waitcnt vmcnt(0)
	v_and_b32_e32 v2, 0xffff, v2
	v_lshlrev_b64 v[10:11], s16, v[2:3]
	s_add_u32 s16, s16, 8
	s_addc_u32 s17, s17, 0
	s_add_u32 s18, s18, 1
	s_addc_u32 s19, s19, 0
	v_or_b32_e32 v8, v10, v8
	s_cmp_lg_u32 s4, s16
	v_or_b32_e32 v9, v11, v9
	s_cbranch_scc1 .LBB3_146
	s_branch .LBB3_149
.LBB3_147:                              ;   in Loop: Header=BB3_143 Depth=1
	s_mov_b32 s20, 0
	s_branch .LBB3_150
.LBB3_148:                              ;   in Loop: Header=BB3_143 Depth=1
	v_mov_b32_e32 v8, 0
	v_mov_b32_e32 v9, 0
.LBB3_149:                              ;   in Loop: Header=BB3_143 Depth=1
	s_mov_b64 s[4:5], s[6:7]
	s_mov_b32 s20, 0
	s_cbranch_execnz .LBB3_151
.LBB3_150:                              ;   in Loop: Header=BB3_143 Depth=1
	global_load_dwordx2 v[8:9], v3, s[6:7]
	s_add_i32 s20, s14, -8
.LBB3_151:                              ;   in Loop: Header=BB3_143 Depth=1
	s_add_u32 s16, s4, 8
	s_addc_u32 s17, s5, 0
	s_cmp_gt_u32 s20, 7
	s_cbranch_scc1 .LBB3_155
; %bb.152:                              ;   in Loop: Header=BB3_143 Depth=1
	s_cmp_eq_u32 s20, 0
	s_cbranch_scc1 .LBB3_156
; %bb.153:                              ;   in Loop: Header=BB3_143 Depth=1
	v_mov_b32_e32 v14, 0
	s_mov_b64 s[16:17], 0
	v_mov_b32_e32 v15, 0
	s_mov_b64 s[18:19], 0
.LBB3_154:                              ;   Parent Loop BB3_143 Depth=1
                                        ; =>  This Inner Loop Header: Depth=2
	s_add_u32 s22, s4, s18
	s_addc_u32 s23, s5, s19
	global_load_ubyte v2, v3, s[22:23]
	s_add_u32 s18, s18, 1
	s_addc_u32 s19, s19, 0
	s_waitcnt vmcnt(0)
	v_and_b32_e32 v2, 0xffff, v2
	v_lshlrev_b64 v[10:11], s16, v[2:3]
	s_add_u32 s16, s16, 8
	s_addc_u32 s17, s17, 0
	v_or_b32_e32 v14, v10, v14
	s_cmp_lg_u32 s20, s18
	v_or_b32_e32 v15, v11, v15
	s_cbranch_scc1 .LBB3_154
	s_branch .LBB3_157
.LBB3_155:                              ;   in Loop: Header=BB3_143 Depth=1
                                        ; implicit-def: $vgpr14_vgpr15
	s_mov_b32 s21, 0
	s_branch .LBB3_158
.LBB3_156:                              ;   in Loop: Header=BB3_143 Depth=1
	v_mov_b32_e32 v14, 0
	v_mov_b32_e32 v15, 0
.LBB3_157:                              ;   in Loop: Header=BB3_143 Depth=1
	s_mov_b64 s[16:17], s[4:5]
	s_mov_b32 s21, 0
	s_cbranch_execnz .LBB3_159
.LBB3_158:                              ;   in Loop: Header=BB3_143 Depth=1
	global_load_dwordx2 v[14:15], v3, s[4:5]
	s_add_i32 s21, s20, -8
.LBB3_159:                              ;   in Loop: Header=BB3_143 Depth=1
	s_add_u32 s4, s16, 8
	s_addc_u32 s5, s17, 0
	s_cmp_gt_u32 s21, 7
	s_cbranch_scc1 .LBB3_163
; %bb.160:                              ;   in Loop: Header=BB3_143 Depth=1
	s_cmp_eq_u32 s21, 0
	s_cbranch_scc1 .LBB3_164
; %bb.161:                              ;   in Loop: Header=BB3_143 Depth=1
	v_mov_b32_e32 v16, 0
	s_mov_b64 s[4:5], 0
	v_mov_b32_e32 v17, 0
	s_mov_b64 s[18:19], 0
.LBB3_162:                              ;   Parent Loop BB3_143 Depth=1
                                        ; =>  This Inner Loop Header: Depth=2
	s_add_u32 s22, s16, s18
	s_addc_u32 s23, s17, s19
	global_load_ubyte v2, v3, s[22:23]
	s_add_u32 s18, s18, 1
	s_addc_u32 s19, s19, 0
	s_waitcnt vmcnt(0)
	v_and_b32_e32 v2, 0xffff, v2
	v_lshlrev_b64 v[10:11], s4, v[2:3]
	s_add_u32 s4, s4, 8
	s_addc_u32 s5, s5, 0
	v_or_b32_e32 v16, v10, v16
	s_cmp_lg_u32 s21, s18
	v_or_b32_e32 v17, v11, v17
	s_cbranch_scc1 .LBB3_162
	s_branch .LBB3_165
.LBB3_163:                              ;   in Loop: Header=BB3_143 Depth=1
	s_mov_b32 s20, 0
	s_branch .LBB3_166
.LBB3_164:                              ;   in Loop: Header=BB3_143 Depth=1
	v_mov_b32_e32 v16, 0
	v_mov_b32_e32 v17, 0
.LBB3_165:                              ;   in Loop: Header=BB3_143 Depth=1
	s_mov_b64 s[4:5], s[16:17]
	s_mov_b32 s20, 0
	s_cbranch_execnz .LBB3_167
.LBB3_166:                              ;   in Loop: Header=BB3_143 Depth=1
	global_load_dwordx2 v[16:17], v3, s[16:17]
	s_add_i32 s20, s21, -8
.LBB3_167:                              ;   in Loop: Header=BB3_143 Depth=1
	s_add_u32 s16, s4, 8
	s_addc_u32 s17, s5, 0
	s_cmp_gt_u32 s20, 7
	s_cbranch_scc1 .LBB3_171
; %bb.168:                              ;   in Loop: Header=BB3_143 Depth=1
	s_cmp_eq_u32 s20, 0
	s_cbranch_scc1 .LBB3_172
; %bb.169:                              ;   in Loop: Header=BB3_143 Depth=1
	v_mov_b32_e32 v18, 0
	s_mov_b64 s[16:17], 0
	v_mov_b32_e32 v19, 0
	s_mov_b64 s[18:19], 0
.LBB3_170:                              ;   Parent Loop BB3_143 Depth=1
                                        ; =>  This Inner Loop Header: Depth=2
	s_add_u32 s22, s4, s18
	s_addc_u32 s23, s5, s19
	global_load_ubyte v2, v3, s[22:23]
	s_add_u32 s18, s18, 1
	s_addc_u32 s19, s19, 0
	s_waitcnt vmcnt(0)
	v_and_b32_e32 v2, 0xffff, v2
	v_lshlrev_b64 v[10:11], s16, v[2:3]
	s_add_u32 s16, s16, 8
	s_addc_u32 s17, s17, 0
	v_or_b32_e32 v18, v10, v18
	s_cmp_lg_u32 s20, s18
	v_or_b32_e32 v19, v11, v19
	s_cbranch_scc1 .LBB3_170
	s_branch .LBB3_173
.LBB3_171:                              ;   in Loop: Header=BB3_143 Depth=1
                                        ; implicit-def: $vgpr18_vgpr19
	s_mov_b32 s21, 0
	s_branch .LBB3_174
.LBB3_172:                              ;   in Loop: Header=BB3_143 Depth=1
	v_mov_b32_e32 v18, 0
	v_mov_b32_e32 v19, 0
.LBB3_173:                              ;   in Loop: Header=BB3_143 Depth=1
	s_mov_b64 s[16:17], s[4:5]
	s_mov_b32 s21, 0
	s_cbranch_execnz .LBB3_175
.LBB3_174:                              ;   in Loop: Header=BB3_143 Depth=1
	global_load_dwordx2 v[18:19], v3, s[4:5]
	s_add_i32 s21, s20, -8
.LBB3_175:                              ;   in Loop: Header=BB3_143 Depth=1
	s_add_u32 s4, s16, 8
	s_addc_u32 s5, s17, 0
	s_cmp_gt_u32 s21, 7
	s_cbranch_scc1 .LBB3_179
; %bb.176:                              ;   in Loop: Header=BB3_143 Depth=1
	s_cmp_eq_u32 s21, 0
	s_cbranch_scc1 .LBB3_180
; %bb.177:                              ;   in Loop: Header=BB3_143 Depth=1
	v_mov_b32_e32 v20, 0
	s_mov_b64 s[4:5], 0
	v_mov_b32_e32 v21, 0
	s_mov_b64 s[18:19], 0
.LBB3_178:                              ;   Parent Loop BB3_143 Depth=1
                                        ; =>  This Inner Loop Header: Depth=2
	s_add_u32 s22, s16, s18
	s_addc_u32 s23, s17, s19
	global_load_ubyte v2, v3, s[22:23]
	s_add_u32 s18, s18, 1
	s_addc_u32 s19, s19, 0
	s_waitcnt vmcnt(0)
	v_and_b32_e32 v2, 0xffff, v2
	v_lshlrev_b64 v[10:11], s4, v[2:3]
	s_add_u32 s4, s4, 8
	s_addc_u32 s5, s5, 0
	v_or_b32_e32 v20, v10, v20
	s_cmp_lg_u32 s21, s18
	v_or_b32_e32 v21, v11, v21
	s_cbranch_scc1 .LBB3_178
	s_branch .LBB3_181
.LBB3_179:                              ;   in Loop: Header=BB3_143 Depth=1
	s_mov_b32 s20, 0
	s_branch .LBB3_182
.LBB3_180:                              ;   in Loop: Header=BB3_143 Depth=1
	v_mov_b32_e32 v20, 0
	v_mov_b32_e32 v21, 0
.LBB3_181:                              ;   in Loop: Header=BB3_143 Depth=1
	s_mov_b64 s[4:5], s[16:17]
	s_mov_b32 s20, 0
	s_cbranch_execnz .LBB3_183
.LBB3_182:                              ;   in Loop: Header=BB3_143 Depth=1
	global_load_dwordx2 v[20:21], v3, s[16:17]
	s_add_i32 s20, s21, -8
.LBB3_183:                              ;   in Loop: Header=BB3_143 Depth=1
	s_add_u32 s16, s4, 8
	s_addc_u32 s17, s5, 0
	s_cmp_gt_u32 s20, 7
	s_cbranch_scc1 .LBB3_187
; %bb.184:                              ;   in Loop: Header=BB3_143 Depth=1
	s_cmp_eq_u32 s20, 0
	s_cbranch_scc1 .LBB3_188
; %bb.185:                              ;   in Loop: Header=BB3_143 Depth=1
	v_mov_b32_e32 v22, 0
	s_mov_b64 s[16:17], 0
	v_mov_b32_e32 v23, 0
	s_mov_b64 s[18:19], 0
.LBB3_186:                              ;   Parent Loop BB3_143 Depth=1
                                        ; =>  This Inner Loop Header: Depth=2
	s_add_u32 s22, s4, s18
	s_addc_u32 s23, s5, s19
	global_load_ubyte v2, v3, s[22:23]
	s_add_u32 s18, s18, 1
	s_addc_u32 s19, s19, 0
	s_waitcnt vmcnt(0)
	v_and_b32_e32 v2, 0xffff, v2
	v_lshlrev_b64 v[10:11], s16, v[2:3]
	s_add_u32 s16, s16, 8
	s_addc_u32 s17, s17, 0
	v_or_b32_e32 v22, v10, v22
	s_cmp_lg_u32 s20, s18
	v_or_b32_e32 v23, v11, v23
	s_cbranch_scc1 .LBB3_186
	s_branch .LBB3_189
.LBB3_187:                              ;   in Loop: Header=BB3_143 Depth=1
                                        ; implicit-def: $vgpr22_vgpr23
	s_mov_b32 s21, 0
	s_branch .LBB3_190
.LBB3_188:                              ;   in Loop: Header=BB3_143 Depth=1
	v_mov_b32_e32 v22, 0
	v_mov_b32_e32 v23, 0
.LBB3_189:                              ;   in Loop: Header=BB3_143 Depth=1
	s_mov_b64 s[16:17], s[4:5]
	s_mov_b32 s21, 0
	s_cbranch_execnz .LBB3_191
.LBB3_190:                              ;   in Loop: Header=BB3_143 Depth=1
	global_load_dwordx2 v[22:23], v3, s[4:5]
	s_add_i32 s21, s20, -8
.LBB3_191:                              ;   in Loop: Header=BB3_143 Depth=1
	s_cmp_gt_u32 s21, 7
	s_cbranch_scc1 .LBB3_195
; %bb.192:                              ;   in Loop: Header=BB3_143 Depth=1
	s_cmp_eq_u32 s21, 0
	s_cbranch_scc1 .LBB3_196
; %bb.193:                              ;   in Loop: Header=BB3_143 Depth=1
	v_mov_b32_e32 v24, 0
	s_mov_b64 s[4:5], 0
	v_mov_b32_e32 v25, 0
	s_mov_b64 s[18:19], s[16:17]
.LBB3_194:                              ;   Parent Loop BB3_143 Depth=1
                                        ; =>  This Inner Loop Header: Depth=2
	global_load_ubyte v2, v3, s[18:19]
	s_add_i32 s21, s21, -1
	s_waitcnt vmcnt(0)
	v_and_b32_e32 v2, 0xffff, v2
	v_lshlrev_b64 v[10:11], s4, v[2:3]
	s_add_u32 s4, s4, 8
	s_addc_u32 s5, s5, 0
	s_add_u32 s18, s18, 1
	s_addc_u32 s19, s19, 0
	v_or_b32_e32 v24, v10, v24
	s_cmp_lg_u32 s21, 0
	v_or_b32_e32 v25, v11, v25
	s_cbranch_scc1 .LBB3_194
	s_branch .LBB3_197
.LBB3_195:                              ;   in Loop: Header=BB3_143 Depth=1
	s_branch .LBB3_198
.LBB3_196:                              ;   in Loop: Header=BB3_143 Depth=1
	v_mov_b32_e32 v24, 0
	v_mov_b32_e32 v25, 0
.LBB3_197:                              ;   in Loop: Header=BB3_143 Depth=1
	s_cbranch_execnz .LBB3_199
.LBB3_198:                              ;   in Loop: Header=BB3_143 Depth=1
	global_load_dwordx2 v[24:25], v3, s[16:17]
.LBB3_199:                              ;   in Loop: Header=BB3_143 Depth=1
	v_readfirstlane_b32 s4, v34
	v_mov_b32_e32 v10, 0
	v_mov_b32_e32 v11, 0
	v_cmp_eq_u32_e64 s[4:5], s4, v34
	s_and_saveexec_b64 s[16:17], s[4:5]
	s_cbranch_execz .LBB3_205
; %bb.200:                              ;   in Loop: Header=BB3_143 Depth=1
	global_load_dwordx2 v[28:29], v3, s[10:11] offset:24 glc
	s_waitcnt vmcnt(0)
	buffer_wbinvl1_vol
	global_load_dwordx2 v[10:11], v3, s[10:11] offset:40
	global_load_dwordx2 v[26:27], v3, s[10:11]
	s_waitcnt vmcnt(1)
	v_and_b32_e32 v2, v10, v28
	v_and_b32_e32 v10, v11, v29
	v_mul_lo_u32 v10, v10, 24
	v_mul_hi_u32 v11, v2, 24
	v_mul_lo_u32 v2, v2, 24
	v_add_u32_e32 v11, v11, v10
	s_waitcnt vmcnt(0)
	v_add_co_u32_e32 v10, vcc, v26, v2
	v_addc_co_u32_e32 v11, vcc, v27, v11, vcc
	global_load_dwordx2 v[26:27], v[10:11], off glc
	s_waitcnt vmcnt(0)
	global_atomic_cmpswap_x2 v[10:11], v3, v[26:29], s[10:11] offset:24 glc
	s_waitcnt vmcnt(0)
	buffer_wbinvl1_vol
	v_cmp_ne_u64_e32 vcc, v[10:11], v[28:29]
	s_and_saveexec_b64 s[18:19], vcc
	s_cbranch_execz .LBB3_204
; %bb.201:                              ;   in Loop: Header=BB3_143 Depth=1
	s_mov_b64 s[20:21], 0
.LBB3_202:                              ;   Parent Loop BB3_143 Depth=1
                                        ; =>  This Inner Loop Header: Depth=2
	s_sleep 1
	global_load_dwordx2 v[26:27], v3, s[10:11] offset:40
	global_load_dwordx2 v[30:31], v3, s[10:11]
	v_mov_b32_e32 v29, v11
	v_mov_b32_e32 v28, v10
	s_waitcnt vmcnt(1)
	v_and_b32_e32 v2, v26, v28
	s_waitcnt vmcnt(0)
	v_mad_u64_u32 v[10:11], s[22:23], v2, 24, v[30:31]
	v_and_b32_e32 v26, v27, v29
	v_mov_b32_e32 v2, v11
	v_mad_u64_u32 v[26:27], s[22:23], v26, 24, v[2:3]
	v_mov_b32_e32 v11, v26
	global_load_dwordx2 v[26:27], v[10:11], off glc
	s_waitcnt vmcnt(0)
	global_atomic_cmpswap_x2 v[10:11], v3, v[26:29], s[10:11] offset:24 glc
	s_waitcnt vmcnt(0)
	buffer_wbinvl1_vol
	v_cmp_eq_u64_e32 vcc, v[10:11], v[28:29]
	s_or_b64 s[20:21], vcc, s[20:21]
	s_andn2_b64 exec, exec, s[20:21]
	s_cbranch_execnz .LBB3_202
; %bb.203:                              ;   in Loop: Header=BB3_143 Depth=1
	s_or_b64 exec, exec, s[20:21]
.LBB3_204:                              ;   in Loop: Header=BB3_143 Depth=1
	s_or_b64 exec, exec, s[18:19]
.LBB3_205:                              ;   in Loop: Header=BB3_143 Depth=1
	s_or_b64 exec, exec, s[16:17]
	global_load_dwordx2 v[30:31], v3, s[10:11] offset:40
	global_load_dwordx4 v[26:29], v3, s[10:11]
	v_readfirstlane_b32 s17, v11
	v_readfirstlane_b32 s16, v10
	s_mov_b64 s[18:19], exec
	s_waitcnt vmcnt(1)
	v_readfirstlane_b32 s20, v30
	v_readfirstlane_b32 s21, v31
	s_and_b64 s[20:21], s[20:21], s[16:17]
	s_mul_i32 s22, s21, 24
	s_mul_hi_u32 s23, s20, 24
	s_mul_i32 s24, s20, 24
	s_add_i32 s22, s23, s22
	v_mov_b32_e32 v2, s22
	s_waitcnt vmcnt(0)
	v_add_co_u32_e32 v30, vcc, s24, v26
	v_addc_co_u32_e32 v31, vcc, v27, v2, vcc
	s_and_saveexec_b64 s[22:23], s[4:5]
	s_cbranch_execz .LBB3_207
; %bb.206:                              ;   in Loop: Header=BB3_143 Depth=1
	v_mov_b32_e32 v10, s18
	v_mov_b32_e32 v11, s19
	global_store_dwordx4 v[30:31], v[10:13], off offset:8
.LBB3_207:                              ;   in Loop: Header=BB3_143 Depth=1
	s_or_b64 exec, exec, s[22:23]
	s_lshl_b64 s[18:19], s[20:21], 12
	v_mov_b32_e32 v2, s19
	v_add_co_u32_e32 v28, vcc, s18, v28
	v_addc_co_u32_e32 v29, vcc, v29, v2, vcc
	v_cmp_lt_u64_e64 vcc, s[12:13], 57
	s_lshl_b32 s18, s14, 2
	v_cndmask_b32_e32 v2, 0, v32, vcc
	s_add_i32 s18, s18, 28
	v_and_b32_e32 v6, 0xffffff1f, v6
	s_and_b32 s18, s18, 0x1e0
	v_or_b32_e32 v2, v6, v2
	v_or_b32_e32 v6, s18, v2
	v_readfirstlane_b32 s18, v28
	v_readfirstlane_b32 s19, v29
	s_nop 4
	global_store_dwordx4 v35, v[6:9], s[18:19]
	global_store_dwordx4 v35, v[14:17], s[18:19] offset:16
	global_store_dwordx4 v35, v[18:21], s[18:19] offset:32
	;; [unrolled: 1-line block ×3, first 2 shown]
	s_and_saveexec_b64 s[18:19], s[4:5]
	s_cbranch_execz .LBB3_215
; %bb.208:                              ;   in Loop: Header=BB3_143 Depth=1
	global_load_dwordx2 v[16:17], v3, s[10:11] offset:32 glc
	global_load_dwordx2 v[6:7], v3, s[10:11] offset:40
	v_mov_b32_e32 v14, s16
	v_mov_b32_e32 v15, s17
	s_waitcnt vmcnt(0)
	v_readfirstlane_b32 s20, v6
	v_readfirstlane_b32 s21, v7
	s_and_b64 s[20:21], s[20:21], s[16:17]
	s_mul_i32 s21, s21, 24
	s_mul_hi_u32 s22, s20, 24
	s_mul_i32 s20, s20, 24
	s_add_i32 s21, s22, s21
	v_mov_b32_e32 v2, s21
	v_add_co_u32_e32 v10, vcc, s20, v26
	v_addc_co_u32_e32 v11, vcc, v27, v2, vcc
	global_store_dwordx2 v[10:11], v[16:17], off
	s_waitcnt vmcnt(0)
	global_atomic_cmpswap_x2 v[8:9], v3, v[14:17], s[10:11] offset:32 glc
	s_waitcnt vmcnt(0)
	v_cmp_ne_u64_e32 vcc, v[8:9], v[16:17]
	s_and_saveexec_b64 s[20:21], vcc
	s_cbranch_execz .LBB3_211
; %bb.209:                              ;   in Loop: Header=BB3_143 Depth=1
	s_mov_b64 s[22:23], 0
.LBB3_210:                              ;   Parent Loop BB3_143 Depth=1
                                        ; =>  This Inner Loop Header: Depth=2
	s_sleep 1
	global_store_dwordx2 v[10:11], v[8:9], off
	v_mov_b32_e32 v6, s16
	v_mov_b32_e32 v7, s17
	s_waitcnt vmcnt(0)
	global_atomic_cmpswap_x2 v[6:7], v3, v[6:9], s[10:11] offset:32 glc
	s_waitcnt vmcnt(0)
	v_cmp_eq_u64_e32 vcc, v[6:7], v[8:9]
	v_mov_b32_e32 v9, v7
	s_or_b64 s[22:23], vcc, s[22:23]
	v_mov_b32_e32 v8, v6
	s_andn2_b64 exec, exec, s[22:23]
	s_cbranch_execnz .LBB3_210
.LBB3_211:                              ;   in Loop: Header=BB3_143 Depth=1
	s_or_b64 exec, exec, s[20:21]
	global_load_dwordx2 v[6:7], v3, s[10:11] offset:16
	s_mov_b64 s[22:23], exec
	v_mbcnt_lo_u32_b32 v2, s22, 0
	v_mbcnt_hi_u32_b32 v2, s23, v2
	v_cmp_eq_u32_e32 vcc, 0, v2
	s_and_saveexec_b64 s[20:21], vcc
	s_cbranch_execz .LBB3_213
; %bb.212:                              ;   in Loop: Header=BB3_143 Depth=1
	s_bcnt1_i32_b64 s22, s[22:23]
	v_mov_b32_e32 v2, s22
	s_waitcnt vmcnt(0)
	global_atomic_add_x2 v[6:7], v[2:3], off offset:8
.LBB3_213:                              ;   in Loop: Header=BB3_143 Depth=1
	s_or_b64 exec, exec, s[20:21]
	s_waitcnt vmcnt(0)
	global_load_dwordx2 v[8:9], v[6:7], off offset:16
	s_waitcnt vmcnt(0)
	v_cmp_eq_u64_e32 vcc, 0, v[8:9]
	s_cbranch_vccnz .LBB3_215
; %bb.214:                              ;   in Loop: Header=BB3_143 Depth=1
	global_load_dword v2, v[6:7], off offset:24
	s_waitcnt vmcnt(0)
	v_readfirstlane_b32 s20, v2
	s_and_b32 m0, s20, 0xffffff
	global_store_dwordx2 v[8:9], v[2:3], off
	s_sendmsg sendmsg(MSG_INTERRUPT)
.LBB3_215:                              ;   in Loop: Header=BB3_143 Depth=1
	s_or_b64 exec, exec, s[18:19]
	v_add_co_u32_e32 v6, vcc, v28, v35
	v_addc_co_u32_e32 v7, vcc, 0, v29, vcc
	s_branch .LBB3_219
.LBB3_216:                              ;   in Loop: Header=BB3_219 Depth=2
	s_or_b64 exec, exec, s[18:19]
	v_readfirstlane_b32 s18, v2
	s_cmp_eq_u32 s18, 0
	s_cbranch_scc1 .LBB3_218
; %bb.217:                              ;   in Loop: Header=BB3_219 Depth=2
	s_sleep 1
	s_cbranch_execnz .LBB3_219
	s_branch .LBB3_221
.LBB3_218:                              ;   in Loop: Header=BB3_143 Depth=1
	s_branch .LBB3_221
.LBB3_219:                              ;   Parent Loop BB3_143 Depth=1
                                        ; =>  This Inner Loop Header: Depth=2
	v_mov_b32_e32 v2, 1
	s_and_saveexec_b64 s[18:19], s[4:5]
	s_cbranch_execz .LBB3_216
; %bb.220:                              ;   in Loop: Header=BB3_219 Depth=2
	global_load_dword v2, v[30:31], off offset:20 glc
	s_waitcnt vmcnt(0)
	buffer_wbinvl1_vol
	v_and_b32_e32 v2, 1, v2
	s_branch .LBB3_216
.LBB3_221:                              ;   in Loop: Header=BB3_143 Depth=1
	global_load_dwordx2 v[6:7], v[6:7], off
	s_and_saveexec_b64 s[18:19], s[4:5]
	s_cbranch_execz .LBB3_142
; %bb.222:                              ;   in Loop: Header=BB3_143 Depth=1
	global_load_dwordx2 v[8:9], v3, s[10:11] offset:40
	global_load_dwordx2 v[18:19], v3, s[10:11] offset:24 glc
	global_load_dwordx2 v[10:11], v3, s[10:11]
	s_waitcnt vmcnt(2)
	v_readfirstlane_b32 s20, v8
	v_readfirstlane_b32 s21, v9
	s_add_u32 s22, s20, 1
	s_addc_u32 s23, s21, 0
	s_add_u32 s4, s22, s16
	s_addc_u32 s5, s23, s17
	s_cmp_eq_u64 s[4:5], 0
	s_cselect_b32 s5, s23, s5
	s_cselect_b32 s4, s22, s4
	s_and_b64 s[16:17], s[4:5], s[20:21]
	s_mul_i32 s17, s17, 24
	s_mul_hi_u32 s20, s16, 24
	s_mul_i32 s16, s16, 24
	s_add_i32 s17, s20, s17
	v_mov_b32_e32 v2, s17
	s_waitcnt vmcnt(0)
	v_add_co_u32_e32 v14, vcc, s16, v10
	v_addc_co_u32_e32 v15, vcc, v11, v2, vcc
	v_mov_b32_e32 v16, s4
	global_store_dwordx2 v[14:15], v[18:19], off
	v_mov_b32_e32 v17, s5
	s_waitcnt vmcnt(0)
	global_atomic_cmpswap_x2 v[10:11], v3, v[16:19], s[10:11] offset:24 glc
	s_waitcnt vmcnt(0)
	v_cmp_ne_u64_e32 vcc, v[10:11], v[18:19]
	s_and_b64 exec, exec, vcc
	s_cbranch_execz .LBB3_142
; %bb.223:                              ;   in Loop: Header=BB3_143 Depth=1
	s_mov_b64 s[16:17], 0
.LBB3_224:                              ;   Parent Loop BB3_143 Depth=1
                                        ; =>  This Inner Loop Header: Depth=2
	s_sleep 1
	global_store_dwordx2 v[14:15], v[10:11], off
	v_mov_b32_e32 v8, s4
	v_mov_b32_e32 v9, s5
	s_waitcnt vmcnt(0)
	global_atomic_cmpswap_x2 v[8:9], v3, v[8:11], s[10:11] offset:24 glc
	s_waitcnt vmcnt(0)
	v_cmp_eq_u64_e32 vcc, v[8:9], v[10:11]
	v_mov_b32_e32 v11, v9
	s_or_b64 s[16:17], vcc, s[16:17]
	v_mov_b32_e32 v10, v8
	s_andn2_b64 exec, exec, s[16:17]
	s_cbranch_execnz .LBB3_224
	s_branch .LBB3_142
.LBB3_225:
                                        ; implicit-def: $vgpr6_vgpr7
	s_cbranch_execnz .LBB3_227
	s_branch .LBB3_253
.LBB3_226:
	s_branch .LBB3_253
.LBB3_227:
	v_readfirstlane_b32 s4, v34
	v_mov_b32_e32 v10, 0
	v_mov_b32_e32 v11, 0
	v_cmp_eq_u32_e64 s[4:5], s4, v34
	s_and_saveexec_b64 s[6:7], s[4:5]
	s_cbranch_execz .LBB3_233
; %bb.228:
	v_mov_b32_e32 v2, 0
	global_load_dwordx2 v[8:9], v2, s[10:11] offset:24 glc
	s_waitcnt vmcnt(0)
	buffer_wbinvl1_vol
	global_load_dwordx2 v[6:7], v2, s[10:11] offset:40
	global_load_dwordx2 v[10:11], v2, s[10:11]
	s_waitcnt vmcnt(1)
	v_and_b32_e32 v3, v6, v8
	v_and_b32_e32 v6, v7, v9
	v_mul_lo_u32 v6, v6, 24
	v_mul_hi_u32 v7, v3, 24
	v_mul_lo_u32 v3, v3, 24
	v_add_u32_e32 v7, v7, v6
	s_waitcnt vmcnt(0)
	v_add_co_u32_e32 v6, vcc, v10, v3
	v_addc_co_u32_e32 v7, vcc, v11, v7, vcc
	global_load_dwordx2 v[6:7], v[6:7], off glc
	s_waitcnt vmcnt(0)
	global_atomic_cmpswap_x2 v[10:11], v2, v[6:9], s[10:11] offset:24 glc
	s_waitcnt vmcnt(0)
	buffer_wbinvl1_vol
	v_cmp_ne_u64_e32 vcc, v[10:11], v[8:9]
	s_and_saveexec_b64 s[12:13], vcc
	s_cbranch_execz .LBB3_232
; %bb.229:
	s_mov_b64 s[14:15], 0
.LBB3_230:                              ; =>This Inner Loop Header: Depth=1
	s_sleep 1
	global_load_dwordx2 v[6:7], v2, s[10:11] offset:40
	global_load_dwordx2 v[12:13], v2, s[10:11]
	v_mov_b32_e32 v8, v10
	v_mov_b32_e32 v9, v11
	s_waitcnt vmcnt(1)
	v_and_b32_e32 v3, v6, v8
	s_waitcnt vmcnt(0)
	v_mad_u64_u32 v[10:11], s[16:17], v3, 24, v[12:13]
	v_and_b32_e32 v6, v7, v9
	v_mov_b32_e32 v3, v11
	v_mad_u64_u32 v[6:7], s[16:17], v6, 24, v[3:4]
	v_mov_b32_e32 v11, v6
	global_load_dwordx2 v[6:7], v[10:11], off glc
	s_waitcnt vmcnt(0)
	global_atomic_cmpswap_x2 v[10:11], v2, v[6:9], s[10:11] offset:24 glc
	s_waitcnt vmcnt(0)
	buffer_wbinvl1_vol
	v_cmp_eq_u64_e32 vcc, v[10:11], v[8:9]
	s_or_b64 s[14:15], vcc, s[14:15]
	s_andn2_b64 exec, exec, s[14:15]
	s_cbranch_execnz .LBB3_230
; %bb.231:
	s_or_b64 exec, exec, s[14:15]
.LBB3_232:
	s_or_b64 exec, exec, s[12:13]
.LBB3_233:
	s_or_b64 exec, exec, s[6:7]
	v_mov_b32_e32 v2, 0
	global_load_dwordx2 v[12:13], v2, s[10:11] offset:40
	global_load_dwordx4 v[6:9], v2, s[10:11]
	v_readfirstlane_b32 s7, v11
	v_readfirstlane_b32 s6, v10
	s_mov_b64 s[12:13], exec
	s_waitcnt vmcnt(1)
	v_readfirstlane_b32 s14, v12
	v_readfirstlane_b32 s15, v13
	s_and_b64 s[14:15], s[14:15], s[6:7]
	s_mul_i32 s16, s15, 24
	s_mul_hi_u32 s17, s14, 24
	s_mul_i32 s18, s14, 24
	s_add_i32 s16, s17, s16
	v_mov_b32_e32 v3, s16
	s_waitcnt vmcnt(0)
	v_add_co_u32_e32 v10, vcc, s18, v6
	v_addc_co_u32_e32 v11, vcc, v7, v3, vcc
	s_and_saveexec_b64 s[16:17], s[4:5]
	s_cbranch_execz .LBB3_235
; %bb.234:
	v_mov_b32_e32 v12, s12
	v_mov_b32_e32 v13, s13
	;; [unrolled: 1-line block ×4, first 2 shown]
	global_store_dwordx4 v[10:11], v[12:15], off offset:8
.LBB3_235:
	s_or_b64 exec, exec, s[16:17]
	s_lshl_b64 s[12:13], s[14:15], 12
	v_mov_b32_e32 v3, s13
	v_add_co_u32_e32 v12, vcc, s12, v8
	v_addc_co_u32_e32 v13, vcc, v9, v3, vcc
	s_movk_i32 s12, 0xff1f
	v_and_or_b32 v0, v0, s12, 32
	s_mov_b32 s12, 0
	v_mov_b32_e32 v3, v2
	v_readfirstlane_b32 s16, v12
	v_readfirstlane_b32 s17, v13
	v_add_co_u32_e32 v8, vcc, v12, v35
	s_mov_b32 s13, s12
	s_mov_b32 s14, s12
	;; [unrolled: 1-line block ×3, first 2 shown]
	s_nop 0
	global_store_dwordx4 v35, v[0:3], s[16:17]
	v_addc_co_u32_e32 v9, vcc, 0, v13, vcc
	v_mov_b32_e32 v0, s12
	v_mov_b32_e32 v1, s13
	v_mov_b32_e32 v2, s14
	v_mov_b32_e32 v3, s15
	global_store_dwordx4 v35, v[0:3], s[16:17] offset:16
	global_store_dwordx4 v35, v[0:3], s[16:17] offset:32
	;; [unrolled: 1-line block ×3, first 2 shown]
	s_and_saveexec_b64 s[12:13], s[4:5]
	s_cbranch_execz .LBB3_243
; %bb.236:
	v_mov_b32_e32 v12, 0
	global_load_dwordx2 v[15:16], v12, s[10:11] offset:32 glc
	global_load_dwordx2 v[0:1], v12, s[10:11] offset:40
	v_mov_b32_e32 v13, s6
	v_mov_b32_e32 v14, s7
	s_waitcnt vmcnt(0)
	v_readfirstlane_b32 s14, v0
	v_readfirstlane_b32 s15, v1
	s_and_b64 s[14:15], s[14:15], s[6:7]
	s_mul_i32 s15, s15, 24
	s_mul_hi_u32 s16, s14, 24
	s_mul_i32 s14, s14, 24
	s_add_i32 s15, s16, s15
	v_mov_b32_e32 v0, s15
	v_add_co_u32_e32 v6, vcc, s14, v6
	v_addc_co_u32_e32 v7, vcc, v7, v0, vcc
	global_store_dwordx2 v[6:7], v[15:16], off
	s_waitcnt vmcnt(0)
	global_atomic_cmpswap_x2 v[2:3], v12, v[13:16], s[10:11] offset:32 glc
	s_waitcnt vmcnt(0)
	v_cmp_ne_u64_e32 vcc, v[2:3], v[15:16]
	s_and_saveexec_b64 s[14:15], vcc
	s_cbranch_execz .LBB3_239
; %bb.237:
	s_mov_b64 s[16:17], 0
.LBB3_238:                              ; =>This Inner Loop Header: Depth=1
	s_sleep 1
	global_store_dwordx2 v[6:7], v[2:3], off
	v_mov_b32_e32 v0, s6
	v_mov_b32_e32 v1, s7
	s_waitcnt vmcnt(0)
	global_atomic_cmpswap_x2 v[0:1], v12, v[0:3], s[10:11] offset:32 glc
	s_waitcnt vmcnt(0)
	v_cmp_eq_u64_e32 vcc, v[0:1], v[2:3]
	v_mov_b32_e32 v3, v1
	s_or_b64 s[16:17], vcc, s[16:17]
	v_mov_b32_e32 v2, v0
	s_andn2_b64 exec, exec, s[16:17]
	s_cbranch_execnz .LBB3_238
.LBB3_239:
	s_or_b64 exec, exec, s[14:15]
	v_mov_b32_e32 v3, 0
	global_load_dwordx2 v[0:1], v3, s[10:11] offset:16
	s_mov_b64 s[14:15], exec
	v_mbcnt_lo_u32_b32 v2, s14, 0
	v_mbcnt_hi_u32_b32 v2, s15, v2
	v_cmp_eq_u32_e32 vcc, 0, v2
	s_and_saveexec_b64 s[16:17], vcc
	s_cbranch_execz .LBB3_241
; %bb.240:
	s_bcnt1_i32_b64 s14, s[14:15]
	v_mov_b32_e32 v2, s14
	s_waitcnt vmcnt(0)
	global_atomic_add_x2 v[0:1], v[2:3], off offset:8
.LBB3_241:
	s_or_b64 exec, exec, s[16:17]
	s_waitcnt vmcnt(0)
	global_load_dwordx2 v[2:3], v[0:1], off offset:16
	s_waitcnt vmcnt(0)
	v_cmp_eq_u64_e32 vcc, 0, v[2:3]
	s_cbranch_vccnz .LBB3_243
; %bb.242:
	global_load_dword v0, v[0:1], off offset:24
	v_mov_b32_e32 v1, 0
	s_waitcnt vmcnt(0)
	v_readfirstlane_b32 s14, v0
	s_and_b32 m0, s14, 0xffffff
	global_store_dwordx2 v[2:3], v[0:1], off
	s_sendmsg sendmsg(MSG_INTERRUPT)
.LBB3_243:
	s_or_b64 exec, exec, s[12:13]
	s_branch .LBB3_247
.LBB3_244:                              ;   in Loop: Header=BB3_247 Depth=1
	s_or_b64 exec, exec, s[12:13]
	v_readfirstlane_b32 s12, v0
	s_cmp_eq_u32 s12, 0
	s_cbranch_scc1 .LBB3_246
; %bb.245:                              ;   in Loop: Header=BB3_247 Depth=1
	s_sleep 1
	s_cbranch_execnz .LBB3_247
	s_branch .LBB3_249
.LBB3_246:
	s_branch .LBB3_249
.LBB3_247:                              ; =>This Inner Loop Header: Depth=1
	v_mov_b32_e32 v0, 1
	s_and_saveexec_b64 s[12:13], s[4:5]
	s_cbranch_execz .LBB3_244
; %bb.248:                              ;   in Loop: Header=BB3_247 Depth=1
	global_load_dword v0, v[10:11], off offset:20 glc
	s_waitcnt vmcnt(0)
	buffer_wbinvl1_vol
	v_and_b32_e32 v0, 1, v0
	s_branch .LBB3_244
.LBB3_249:
	global_load_dwordx2 v[6:7], v[8:9], off
	s_and_saveexec_b64 s[12:13], s[4:5]
	s_cbranch_execz .LBB3_252
; %bb.250:
	v_mov_b32_e32 v10, 0
	global_load_dwordx2 v[0:1], v10, s[10:11] offset:40
	global_load_dwordx2 v[13:14], v10, s[10:11] offset:24 glc
	global_load_dwordx2 v[2:3], v10, s[10:11]
	s_waitcnt vmcnt(2)
	v_readfirstlane_b32 s14, v0
	v_readfirstlane_b32 s15, v1
	s_add_u32 s16, s14, 1
	s_addc_u32 s17, s15, 0
	s_add_u32 s4, s16, s6
	s_addc_u32 s5, s17, s7
	s_cmp_eq_u64 s[4:5], 0
	s_cselect_b32 s5, s17, s5
	s_cselect_b32 s4, s16, s4
	s_and_b64 s[6:7], s[4:5], s[14:15]
	s_mul_i32 s7, s7, 24
	s_mul_hi_u32 s14, s6, 24
	s_mul_i32 s6, s6, 24
	s_add_i32 s7, s14, s7
	v_mov_b32_e32 v0, s7
	s_waitcnt vmcnt(0)
	v_add_co_u32_e32 v8, vcc, s6, v2
	v_addc_co_u32_e32 v9, vcc, v3, v0, vcc
	v_mov_b32_e32 v11, s4
	global_store_dwordx2 v[8:9], v[13:14], off
	v_mov_b32_e32 v12, s5
	s_waitcnt vmcnt(0)
	global_atomic_cmpswap_x2 v[2:3], v10, v[11:14], s[10:11] offset:24 glc
	s_mov_b64 s[6:7], 0
	s_waitcnt vmcnt(0)
	v_cmp_ne_u64_e32 vcc, v[2:3], v[13:14]
	s_and_b64 exec, exec, vcc
	s_cbranch_execz .LBB3_252
.LBB3_251:                              ; =>This Inner Loop Header: Depth=1
	s_sleep 1
	global_store_dwordx2 v[8:9], v[2:3], off
	v_mov_b32_e32 v0, s4
	v_mov_b32_e32 v1, s5
	s_waitcnt vmcnt(0)
	global_atomic_cmpswap_x2 v[0:1], v10, v[0:3], s[10:11] offset:24 glc
	s_waitcnt vmcnt(0)
	v_cmp_eq_u64_e32 vcc, v[0:1], v[2:3]
	v_mov_b32_e32 v3, v1
	s_or_b64 s[6:7], vcc, s[6:7]
	v_mov_b32_e32 v2, v0
	s_andn2_b64 exec, exec, s[6:7]
	s_cbranch_execnz .LBB3_251
.LBB3_252:
	s_or_b64 exec, exec, s[12:13]
.LBB3_253:
	v_readfirstlane_b32 s4, v34
	v_mov_b32_e32 v10, 0
	v_mov_b32_e32 v11, 0
	v_cmp_eq_u32_e64 s[4:5], s4, v34
	s_and_saveexec_b64 s[6:7], s[4:5]
	s_cbranch_execz .LBB3_259
; %bb.254:
	s_waitcnt vmcnt(0)
	v_mov_b32_e32 v0, 0
	global_load_dwordx2 v[12:13], v0, s[10:11] offset:24 glc
	s_waitcnt vmcnt(0)
	buffer_wbinvl1_vol
	global_load_dwordx2 v[1:2], v0, s[10:11] offset:40
	global_load_dwordx2 v[8:9], v0, s[10:11]
	s_waitcnt vmcnt(1)
	v_and_b32_e32 v1, v1, v12
	v_and_b32_e32 v2, v2, v13
	v_mul_lo_u32 v2, v2, 24
	v_mul_hi_u32 v3, v1, 24
	v_mul_lo_u32 v1, v1, 24
	v_add_u32_e32 v2, v3, v2
	s_waitcnt vmcnt(0)
	v_add_co_u32_e32 v1, vcc, v8, v1
	v_addc_co_u32_e32 v2, vcc, v9, v2, vcc
	global_load_dwordx2 v[10:11], v[1:2], off glc
	s_waitcnt vmcnt(0)
	global_atomic_cmpswap_x2 v[10:11], v0, v[10:13], s[10:11] offset:24 glc
	s_waitcnt vmcnt(0)
	buffer_wbinvl1_vol
	v_cmp_ne_u64_e32 vcc, v[10:11], v[12:13]
	s_and_saveexec_b64 s[12:13], vcc
	s_cbranch_execz .LBB3_258
; %bb.255:
	s_mov_b64 s[14:15], 0
.LBB3_256:                              ; =>This Inner Loop Header: Depth=1
	s_sleep 1
	global_load_dwordx2 v[1:2], v0, s[10:11] offset:40
	global_load_dwordx2 v[8:9], v0, s[10:11]
	v_mov_b32_e32 v13, v11
	v_mov_b32_e32 v12, v10
	s_waitcnt vmcnt(1)
	v_and_b32_e32 v1, v1, v12
	s_waitcnt vmcnt(0)
	v_mad_u64_u32 v[8:9], s[16:17], v1, 24, v[8:9]
	v_and_b32_e32 v2, v2, v13
	v_mov_b32_e32 v1, v9
	v_mad_u64_u32 v[1:2], s[16:17], v2, 24, v[1:2]
	v_mov_b32_e32 v9, v1
	global_load_dwordx2 v[10:11], v[8:9], off glc
	s_waitcnt vmcnt(0)
	global_atomic_cmpswap_x2 v[10:11], v0, v[10:13], s[10:11] offset:24 glc
	s_waitcnt vmcnt(0)
	buffer_wbinvl1_vol
	v_cmp_eq_u64_e32 vcc, v[10:11], v[12:13]
	s_or_b64 s[14:15], vcc, s[14:15]
	s_andn2_b64 exec, exec, s[14:15]
	s_cbranch_execnz .LBB3_256
; %bb.257:
	s_or_b64 exec, exec, s[14:15]
.LBB3_258:
	s_or_b64 exec, exec, s[12:13]
.LBB3_259:
	s_or_b64 exec, exec, s[6:7]
	v_mov_b32_e32 v9, 0
	global_load_dwordx2 v[12:13], v9, s[10:11] offset:40
	global_load_dwordx4 v[0:3], v9, s[10:11]
	v_readfirstlane_b32 s7, v11
	v_readfirstlane_b32 s6, v10
	s_mov_b64 s[12:13], exec
	s_waitcnt vmcnt(1)
	v_readfirstlane_b32 s14, v12
	v_readfirstlane_b32 s15, v13
	s_and_b64 s[14:15], s[14:15], s[6:7]
	s_mul_i32 s16, s15, 24
	s_mul_hi_u32 s17, s14, 24
	s_mul_i32 s18, s14, 24
	s_add_i32 s16, s17, s16
	v_mov_b32_e32 v8, s16
	s_waitcnt vmcnt(0)
	v_add_co_u32_e32 v10, vcc, s18, v0
	v_addc_co_u32_e32 v11, vcc, v1, v8, vcc
	s_and_saveexec_b64 s[16:17], s[4:5]
	s_cbranch_execz .LBB3_261
; %bb.260:
	v_mov_b32_e32 v12, s12
	v_mov_b32_e32 v13, s13
	;; [unrolled: 1-line block ×4, first 2 shown]
	global_store_dwordx4 v[10:11], v[12:15], off offset:8
.LBB3_261:
	s_or_b64 exec, exec, s[16:17]
	s_lshl_b64 s[12:13], s[14:15], 12
	v_mov_b32_e32 v8, s13
	v_add_co_u32_e32 v2, vcc, s12, v2
	v_addc_co_u32_e32 v3, vcc, v3, v8, vcc
	s_movk_i32 s12, 0xff1f
	v_and_or_b32 v6, v6, s12, 32
	s_mov_b32 s12, 0
	v_mov_b32_e32 v8, 0x331
	v_readfirstlane_b32 s16, v2
	v_readfirstlane_b32 s17, v3
	v_add_co_u32_e32 v12, vcc, v2, v35
	s_mov_b32 s13, s12
	s_mov_b32 s14, s12
	s_mov_b32 s15, s12
	s_nop 0
	global_store_dwordx4 v35, v[6:9], s[16:17]
	v_addc_co_u32_e32 v13, vcc, 0, v3, vcc
	v_mov_b32_e32 v6, s12
	v_mov_b32_e32 v7, s13
	;; [unrolled: 1-line block ×4, first 2 shown]
	global_store_dwordx4 v35, v[6:9], s[16:17] offset:16
	global_store_dwordx4 v35, v[6:9], s[16:17] offset:32
	;; [unrolled: 1-line block ×3, first 2 shown]
	s_and_saveexec_b64 s[12:13], s[4:5]
	s_cbranch_execz .LBB3_269
; %bb.262:
	v_mov_b32_e32 v8, 0
	global_load_dwordx2 v[16:17], v8, s[10:11] offset:32 glc
	global_load_dwordx2 v[2:3], v8, s[10:11] offset:40
	v_mov_b32_e32 v14, s6
	v_mov_b32_e32 v15, s7
	s_waitcnt vmcnt(0)
	v_readfirstlane_b32 s14, v2
	v_readfirstlane_b32 s15, v3
	s_and_b64 s[14:15], s[14:15], s[6:7]
	s_mul_i32 s15, s15, 24
	s_mul_hi_u32 s16, s14, 24
	s_mul_i32 s14, s14, 24
	s_add_i32 s15, s16, s15
	v_mov_b32_e32 v2, s15
	v_add_co_u32_e32 v6, vcc, s14, v0
	v_addc_co_u32_e32 v7, vcc, v1, v2, vcc
	global_store_dwordx2 v[6:7], v[16:17], off
	s_waitcnt vmcnt(0)
	global_atomic_cmpswap_x2 v[2:3], v8, v[14:17], s[10:11] offset:32 glc
	s_waitcnt vmcnt(0)
	v_cmp_ne_u64_e32 vcc, v[2:3], v[16:17]
	s_and_saveexec_b64 s[14:15], vcc
	s_cbranch_execz .LBB3_265
; %bb.263:
	s_mov_b64 s[16:17], 0
.LBB3_264:                              ; =>This Inner Loop Header: Depth=1
	s_sleep 1
	global_store_dwordx2 v[6:7], v[2:3], off
	v_mov_b32_e32 v0, s6
	v_mov_b32_e32 v1, s7
	s_waitcnt vmcnt(0)
	global_atomic_cmpswap_x2 v[0:1], v8, v[0:3], s[10:11] offset:32 glc
	s_waitcnt vmcnt(0)
	v_cmp_eq_u64_e32 vcc, v[0:1], v[2:3]
	v_mov_b32_e32 v3, v1
	s_or_b64 s[16:17], vcc, s[16:17]
	v_mov_b32_e32 v2, v0
	s_andn2_b64 exec, exec, s[16:17]
	s_cbranch_execnz .LBB3_264
.LBB3_265:
	s_or_b64 exec, exec, s[14:15]
	v_mov_b32_e32 v3, 0
	global_load_dwordx2 v[0:1], v3, s[10:11] offset:16
	s_mov_b64 s[14:15], exec
	v_mbcnt_lo_u32_b32 v2, s14, 0
	v_mbcnt_hi_u32_b32 v2, s15, v2
	v_cmp_eq_u32_e32 vcc, 0, v2
	s_and_saveexec_b64 s[16:17], vcc
	s_cbranch_execz .LBB3_267
; %bb.266:
	s_bcnt1_i32_b64 s14, s[14:15]
	v_mov_b32_e32 v2, s14
	s_waitcnt vmcnt(0)
	global_atomic_add_x2 v[0:1], v[2:3], off offset:8
.LBB3_267:
	s_or_b64 exec, exec, s[16:17]
	s_waitcnt vmcnt(0)
	global_load_dwordx2 v[2:3], v[0:1], off offset:16
	s_waitcnt vmcnt(0)
	v_cmp_eq_u64_e32 vcc, 0, v[2:3]
	s_cbranch_vccnz .LBB3_269
; %bb.268:
	global_load_dword v0, v[0:1], off offset:24
	v_mov_b32_e32 v1, 0
	s_waitcnt vmcnt(0)
	v_readfirstlane_b32 s14, v0
	s_and_b32 m0, s14, 0xffffff
	global_store_dwordx2 v[2:3], v[0:1], off
	s_sendmsg sendmsg(MSG_INTERRUPT)
.LBB3_269:
	s_or_b64 exec, exec, s[12:13]
	s_branch .LBB3_273
.LBB3_270:                              ;   in Loop: Header=BB3_273 Depth=1
	s_or_b64 exec, exec, s[12:13]
	v_readfirstlane_b32 s12, v0
	s_cmp_eq_u32 s12, 0
	s_cbranch_scc1 .LBB3_272
; %bb.271:                              ;   in Loop: Header=BB3_273 Depth=1
	s_sleep 1
	s_cbranch_execnz .LBB3_273
	s_branch .LBB3_275
.LBB3_272:
	s_branch .LBB3_275
.LBB3_273:                              ; =>This Inner Loop Header: Depth=1
	v_mov_b32_e32 v0, 1
	s_and_saveexec_b64 s[12:13], s[4:5]
	s_cbranch_execz .LBB3_270
; %bb.274:                              ;   in Loop: Header=BB3_273 Depth=1
	global_load_dword v0, v[10:11], off offset:20 glc
	s_waitcnt vmcnt(0)
	buffer_wbinvl1_vol
	v_and_b32_e32 v0, 1, v0
	s_branch .LBB3_270
.LBB3_275:
	global_load_dwordx2 v[0:1], v[12:13], off
	s_and_saveexec_b64 s[12:13], s[4:5]
	s_cbranch_execz .LBB3_278
; %bb.276:
	v_mov_b32_e32 v10, 0
	global_load_dwordx2 v[2:3], v10, s[10:11] offset:40
	global_load_dwordx2 v[13:14], v10, s[10:11] offset:24 glc
	global_load_dwordx2 v[6:7], v10, s[10:11]
	s_waitcnt vmcnt(2)
	v_readfirstlane_b32 s14, v2
	v_readfirstlane_b32 s15, v3
	s_add_u32 s16, s14, 1
	s_addc_u32 s17, s15, 0
	s_add_u32 s4, s16, s6
	s_addc_u32 s5, s17, s7
	s_cmp_eq_u64 s[4:5], 0
	s_cselect_b32 s5, s17, s5
	s_cselect_b32 s4, s16, s4
	s_and_b64 s[6:7], s[4:5], s[14:15]
	s_mul_i32 s7, s7, 24
	s_mul_hi_u32 s14, s6, 24
	s_mul_i32 s6, s6, 24
	s_add_i32 s7, s14, s7
	v_mov_b32_e32 v3, s7
	s_waitcnt vmcnt(0)
	v_add_co_u32_e32 v2, vcc, s6, v6
	v_addc_co_u32_e32 v3, vcc, v7, v3, vcc
	v_mov_b32_e32 v11, s4
	global_store_dwordx2 v[2:3], v[13:14], off
	v_mov_b32_e32 v12, s5
	s_waitcnt vmcnt(0)
	global_atomic_cmpswap_x2 v[8:9], v10, v[11:14], s[10:11] offset:24 glc
	s_mov_b64 s[6:7], 0
	s_waitcnt vmcnt(0)
	v_cmp_ne_u64_e32 vcc, v[8:9], v[13:14]
	s_and_b64 exec, exec, vcc
	s_cbranch_execz .LBB3_278
.LBB3_277:                              ; =>This Inner Loop Header: Depth=1
	s_sleep 1
	global_store_dwordx2 v[2:3], v[8:9], off
	v_mov_b32_e32 v6, s4
	v_mov_b32_e32 v7, s5
	s_waitcnt vmcnt(0)
	global_atomic_cmpswap_x2 v[6:7], v10, v[6:9], s[10:11] offset:24 glc
	s_waitcnt vmcnt(0)
	v_cmp_eq_u64_e32 vcc, v[6:7], v[8:9]
	v_mov_b32_e32 v9, v7
	s_or_b64 s[6:7], vcc, s[6:7]
	v_mov_b32_e32 v8, v6
	s_andn2_b64 exec, exec, s[6:7]
	s_cbranch_execnz .LBB3_277
.LBB3_278:
	s_or_b64 exec, exec, s[12:13]
	v_mov_b32_e32 v7, v5
	s_mov_b64 s[4:5], 0
	v_mov_b32_e32 v6, v4
.LBB3_279:                              ; =>This Inner Loop Header: Depth=1
	global_load_ubyte v8, v[6:7], off
	v_add_co_u32_e32 v2, vcc, 1, v6
	v_addc_co_u32_e32 v3, vcc, 0, v7, vcc
	v_mov_b32_e32 v7, v3
	v_mov_b32_e32 v6, v2
	s_waitcnt vmcnt(0)
	v_cmp_eq_u16_e32 vcc, 0, v8
	s_or_b64 s[4:5], vcc, s[4:5]
	s_andn2_b64 exec, exec, s[4:5]
	s_cbranch_execnz .LBB3_279
; %bb.280:
	s_or_b64 exec, exec, s[4:5]
	v_cmp_ne_u64_e32 vcc, 0, v[4:5]
	s_mov_b64 s[12:13], 0
	s_and_saveexec_b64 s[4:5], vcc
	s_xor_b64 s[6:7], exec, s[4:5]
	s_cbranch_execz .LBB3_366
; %bb.281:
	v_sub_u32_e32 v26, v2, v4
	v_ashrrev_i32_e32 v27, 31, v26
	v_and_b32_e32 v36, 2, v0
	v_mov_b32_e32 v29, 0
	v_and_b32_e32 v0, -3, v0
	s_mov_b32 s22, 0
	s_movk_i32 s23, 0x1e0
	v_mov_b32_e32 v8, 2
	v_mov_b32_e32 v9, 1
	s_branch .LBB3_283
.LBB3_282:                              ;   in Loop: Header=BB3_283 Depth=1
	s_or_b64 exec, exec, s[16:17]
	v_sub_co_u32_e32 v26, vcc, v26, v30
	v_subb_co_u32_e32 v27, vcc, v27, v31, vcc
	v_cmp_eq_u64_e32 vcc, 0, v[26:27]
	s_or_b64 s[12:13], vcc, s[12:13]
	v_add_co_u32_e32 v4, vcc, v4, v30
	v_addc_co_u32_e32 v5, vcc, v5, v31, vcc
	s_andn2_b64 exec, exec, s[12:13]
	s_cbranch_execz .LBB3_365
.LBB3_283:                              ; =>This Loop Header: Depth=1
                                        ;     Child Loop BB3_286 Depth 2
                                        ;     Child Loop BB3_294 Depth 2
	;; [unrolled: 1-line block ×11, first 2 shown]
	v_cmp_gt_u64_e32 vcc, 56, v[26:27]
	v_add_co_u32_e64 v12, s[4:5], 8, v4
	v_cndmask_b32_e32 v31, 0, v27, vcc
	v_cndmask_b32_e32 v30, 56, v26, vcc
	v_cmp_gt_u64_e32 vcc, 8, v[26:27]
	v_addc_co_u32_e64 v13, s[4:5], 0, v5, s[4:5]
	s_and_saveexec_b64 s[4:5], vcc
	s_xor_b64 s[4:5], exec, s[4:5]
	s_cbranch_execz .LBB3_289
; %bb.284:                              ;   in Loop: Header=BB3_283 Depth=1
	v_mov_b32_e32 v2, 0
	v_cmp_ne_u64_e32 vcc, 0, v[26:27]
	v_mov_b32_e32 v3, 0
	s_and_saveexec_b64 s[14:15], vcc
	s_cbranch_execz .LBB3_288
; %bb.285:                              ;   in Loop: Header=BB3_283 Depth=1
	v_lshlrev_b64 v[6:7], 3, v[30:31]
	v_mov_b32_e32 v2, 0
	v_mov_b32_e32 v11, v5
	s_mov_b64 s[16:17], 0
	v_mov_b32_e32 v3, 0
	v_mov_b32_e32 v10, v4
	s_mov_b64 s[18:19], 0
.LBB3_286:                              ;   Parent Loop BB3_283 Depth=1
                                        ; =>  This Inner Loop Header: Depth=2
	global_load_ubyte v7, v[10:11], off
	v_mov_b32_e32 v13, s22
	v_add_co_u32_e32 v10, vcc, 1, v10
	v_addc_co_u32_e32 v11, vcc, 0, v11, vcc
	s_waitcnt vmcnt(0)
	v_and_b32_e32 v12, 0xffff, v7
	v_lshlrev_b64 v[12:13], s18, v[12:13]
	s_add_u32 s18, s18, 8
	s_addc_u32 s19, s19, 0
	v_cmp_eq_u32_e32 vcc, s18, v6
	v_or_b32_e32 v3, v13, v3
	s_or_b64 s[16:17], vcc, s[16:17]
	v_or_b32_e32 v2, v12, v2
	s_andn2_b64 exec, exec, s[16:17]
	s_cbranch_execnz .LBB3_286
; %bb.287:                              ;   in Loop: Header=BB3_283 Depth=1
	s_or_b64 exec, exec, s[16:17]
.LBB3_288:                              ;   in Loop: Header=BB3_283 Depth=1
	s_or_b64 exec, exec, s[14:15]
	v_mov_b32_e32 v13, v5
	v_mov_b32_e32 v12, v4
.LBB3_289:                              ;   in Loop: Header=BB3_283 Depth=1
	s_or_saveexec_b64 s[4:5], s[4:5]
	v_mov_b32_e32 v14, 0
	s_xor_b64 exec, exec, s[4:5]
	s_cbranch_execz .LBB3_291
; %bb.290:                              ;   in Loop: Header=BB3_283 Depth=1
	global_load_dwordx2 v[2:3], v[4:5], off
	v_add_u32_e32 v14, -8, v30
.LBB3_291:                              ;   in Loop: Header=BB3_283 Depth=1
	s_or_b64 exec, exec, s[4:5]
	v_add_co_u32_e64 v6, s[4:5], 8, v12
	v_cmp_gt_u32_e32 vcc, 8, v14
	v_addc_co_u32_e64 v7, s[4:5], 0, v13, s[4:5]
                                        ; implicit-def: $vgpr10_vgpr11
	s_and_saveexec_b64 s[4:5], vcc
	s_xor_b64 s[4:5], exec, s[4:5]
	s_cbranch_execz .LBB3_297
; %bb.292:                              ;   in Loop: Header=BB3_283 Depth=1
	v_mov_b32_e32 v10, 0
	v_mov_b32_e32 v11, 0
	v_cmp_ne_u32_e32 vcc, 0, v14
	s_and_saveexec_b64 s[14:15], vcc
	s_cbranch_execz .LBB3_296
; %bb.293:                              ;   in Loop: Header=BB3_283 Depth=1
	v_mov_b32_e32 v10, 0
	s_mov_b64 s[16:17], 0
	v_mov_b32_e32 v11, 0
	s_mov_b64 s[18:19], 0
	s_mov_b64 s[20:21], 0
.LBB3_294:                              ;   Parent Loop BB3_283 Depth=1
                                        ; =>  This Inner Loop Header: Depth=2
	v_mov_b32_e32 v7, s21
	v_add_co_u32_e32 v6, vcc, s20, v12
	v_addc_co_u32_e32 v7, vcc, v13, v7, vcc
	global_load_ubyte v6, v[6:7], off
	s_add_u32 s20, s20, 1
	v_mov_b32_e32 v7, s22
	s_addc_u32 s21, s21, 0
	v_cmp_eq_u32_e32 vcc, s20, v14
	s_waitcnt vmcnt(0)
	v_and_b32_e32 v6, 0xffff, v6
	v_lshlrev_b64 v[6:7], s18, v[6:7]
	s_add_u32 s18, s18, 8
	s_addc_u32 s19, s19, 0
	v_or_b32_e32 v11, v7, v11
	s_or_b64 s[16:17], vcc, s[16:17]
	v_or_b32_e32 v10, v6, v10
	s_andn2_b64 exec, exec, s[16:17]
	s_cbranch_execnz .LBB3_294
; %bb.295:                              ;   in Loop: Header=BB3_283 Depth=1
	s_or_b64 exec, exec, s[16:17]
.LBB3_296:                              ;   in Loop: Header=BB3_283 Depth=1
	s_or_b64 exec, exec, s[14:15]
	v_mov_b32_e32 v6, v12
	v_mov_b32_e32 v7, v13
                                        ; implicit-def: $vgpr14
.LBB3_297:                              ;   in Loop: Header=BB3_283 Depth=1
	s_or_saveexec_b64 s[4:5], s[4:5]
	v_mov_b32_e32 v15, 0
	s_xor_b64 exec, exec, s[4:5]
	s_cbranch_execz .LBB3_299
; %bb.298:                              ;   in Loop: Header=BB3_283 Depth=1
	global_load_dwordx2 v[10:11], v[12:13], off
	v_add_u32_e32 v15, -8, v14
.LBB3_299:                              ;   in Loop: Header=BB3_283 Depth=1
	s_or_b64 exec, exec, s[4:5]
	v_add_co_u32_e64 v16, s[4:5], 8, v6
	v_cmp_gt_u32_e32 vcc, 8, v15
	v_addc_co_u32_e64 v17, s[4:5], 0, v7, s[4:5]
	s_and_saveexec_b64 s[4:5], vcc
	s_xor_b64 s[4:5], exec, s[4:5]
	s_cbranch_execz .LBB3_305
; %bb.300:                              ;   in Loop: Header=BB3_283 Depth=1
	v_mov_b32_e32 v12, 0
	v_mov_b32_e32 v13, 0
	v_cmp_ne_u32_e32 vcc, 0, v15
	s_and_saveexec_b64 s[14:15], vcc
	s_cbranch_execz .LBB3_304
; %bb.301:                              ;   in Loop: Header=BB3_283 Depth=1
	v_mov_b32_e32 v12, 0
	s_mov_b64 s[16:17], 0
	v_mov_b32_e32 v13, 0
	s_mov_b64 s[18:19], 0
	s_mov_b64 s[20:21], 0
.LBB3_302:                              ;   Parent Loop BB3_283 Depth=1
                                        ; =>  This Inner Loop Header: Depth=2
	v_mov_b32_e32 v14, s21
	v_add_co_u32_e32 v16, vcc, s20, v6
	v_addc_co_u32_e32 v17, vcc, v7, v14, vcc
	global_load_ubyte v14, v[16:17], off
	s_add_u32 s20, s20, 1
	v_mov_b32_e32 v17, s22
	s_addc_u32 s21, s21, 0
	v_cmp_eq_u32_e32 vcc, s20, v15
	s_waitcnt vmcnt(0)
	v_and_b32_e32 v16, 0xffff, v14
	v_lshlrev_b64 v[16:17], s18, v[16:17]
	s_add_u32 s18, s18, 8
	s_addc_u32 s19, s19, 0
	v_or_b32_e32 v13, v17, v13
	s_or_b64 s[16:17], vcc, s[16:17]
	v_or_b32_e32 v12, v16, v12
	s_andn2_b64 exec, exec, s[16:17]
	s_cbranch_execnz .LBB3_302
; %bb.303:                              ;   in Loop: Header=BB3_283 Depth=1
	s_or_b64 exec, exec, s[16:17]
.LBB3_304:                              ;   in Loop: Header=BB3_283 Depth=1
	s_or_b64 exec, exec, s[14:15]
	v_mov_b32_e32 v17, v7
	v_mov_b32_e32 v16, v6
                                        ; implicit-def: $vgpr15
.LBB3_305:                              ;   in Loop: Header=BB3_283 Depth=1
	s_or_saveexec_b64 s[4:5], s[4:5]
	v_mov_b32_e32 v18, 0
	s_xor_b64 exec, exec, s[4:5]
	s_cbranch_execz .LBB3_307
; %bb.306:                              ;   in Loop: Header=BB3_283 Depth=1
	global_load_dwordx2 v[12:13], v[6:7], off
	v_add_u32_e32 v18, -8, v15
.LBB3_307:                              ;   in Loop: Header=BB3_283 Depth=1
	s_or_b64 exec, exec, s[4:5]
	v_add_co_u32_e64 v6, s[4:5], 8, v16
	v_cmp_gt_u32_e32 vcc, 8, v18
	v_addc_co_u32_e64 v7, s[4:5], 0, v17, s[4:5]
                                        ; implicit-def: $vgpr14_vgpr15
	s_and_saveexec_b64 s[4:5], vcc
	s_xor_b64 s[4:5], exec, s[4:5]
	s_cbranch_execz .LBB3_313
; %bb.308:                              ;   in Loop: Header=BB3_283 Depth=1
	v_mov_b32_e32 v14, 0
	v_mov_b32_e32 v15, 0
	v_cmp_ne_u32_e32 vcc, 0, v18
	s_and_saveexec_b64 s[14:15], vcc
	s_cbranch_execz .LBB3_312
; %bb.309:                              ;   in Loop: Header=BB3_283 Depth=1
	v_mov_b32_e32 v14, 0
	s_mov_b64 s[16:17], 0
	v_mov_b32_e32 v15, 0
	s_mov_b64 s[18:19], 0
	s_mov_b64 s[20:21], 0
.LBB3_310:                              ;   Parent Loop BB3_283 Depth=1
                                        ; =>  This Inner Loop Header: Depth=2
	v_mov_b32_e32 v7, s21
	v_add_co_u32_e32 v6, vcc, s20, v16
	v_addc_co_u32_e32 v7, vcc, v17, v7, vcc
	global_load_ubyte v6, v[6:7], off
	s_add_u32 s20, s20, 1
	v_mov_b32_e32 v7, s22
	s_addc_u32 s21, s21, 0
	v_cmp_eq_u32_e32 vcc, s20, v18
	s_waitcnt vmcnt(0)
	v_and_b32_e32 v6, 0xffff, v6
	v_lshlrev_b64 v[6:7], s18, v[6:7]
	s_add_u32 s18, s18, 8
	s_addc_u32 s19, s19, 0
	v_or_b32_e32 v15, v7, v15
	s_or_b64 s[16:17], vcc, s[16:17]
	v_or_b32_e32 v14, v6, v14
	s_andn2_b64 exec, exec, s[16:17]
	s_cbranch_execnz .LBB3_310
; %bb.311:                              ;   in Loop: Header=BB3_283 Depth=1
	s_or_b64 exec, exec, s[16:17]
.LBB3_312:                              ;   in Loop: Header=BB3_283 Depth=1
	s_or_b64 exec, exec, s[14:15]
	v_mov_b32_e32 v6, v16
	v_mov_b32_e32 v7, v17
                                        ; implicit-def: $vgpr18
.LBB3_313:                              ;   in Loop: Header=BB3_283 Depth=1
	s_or_saveexec_b64 s[4:5], s[4:5]
	v_mov_b32_e32 v19, 0
	s_xor_b64 exec, exec, s[4:5]
	s_cbranch_execz .LBB3_315
; %bb.314:                              ;   in Loop: Header=BB3_283 Depth=1
	global_load_dwordx2 v[14:15], v[16:17], off
	v_add_u32_e32 v19, -8, v18
.LBB3_315:                              ;   in Loop: Header=BB3_283 Depth=1
	s_or_b64 exec, exec, s[4:5]
	v_add_co_u32_e64 v20, s[4:5], 8, v6
	v_cmp_gt_u32_e32 vcc, 8, v19
	v_addc_co_u32_e64 v21, s[4:5], 0, v7, s[4:5]
	s_and_saveexec_b64 s[4:5], vcc
	s_xor_b64 s[4:5], exec, s[4:5]
	s_cbranch_execz .LBB3_321
; %bb.316:                              ;   in Loop: Header=BB3_283 Depth=1
	v_mov_b32_e32 v16, 0
	v_mov_b32_e32 v17, 0
	v_cmp_ne_u32_e32 vcc, 0, v19
	s_and_saveexec_b64 s[14:15], vcc
	s_cbranch_execz .LBB3_320
; %bb.317:                              ;   in Loop: Header=BB3_283 Depth=1
	v_mov_b32_e32 v16, 0
	s_mov_b64 s[16:17], 0
	v_mov_b32_e32 v17, 0
	s_mov_b64 s[18:19], 0
	s_mov_b64 s[20:21], 0
.LBB3_318:                              ;   Parent Loop BB3_283 Depth=1
                                        ; =>  This Inner Loop Header: Depth=2
	v_mov_b32_e32 v18, s21
	v_add_co_u32_e32 v20, vcc, s20, v6
	v_addc_co_u32_e32 v21, vcc, v7, v18, vcc
	global_load_ubyte v18, v[20:21], off
	s_add_u32 s20, s20, 1
	v_mov_b32_e32 v21, s22
	s_addc_u32 s21, s21, 0
	v_cmp_eq_u32_e32 vcc, s20, v19
	s_waitcnt vmcnt(0)
	v_and_b32_e32 v20, 0xffff, v18
	v_lshlrev_b64 v[20:21], s18, v[20:21]
	s_add_u32 s18, s18, 8
	s_addc_u32 s19, s19, 0
	v_or_b32_e32 v17, v21, v17
	s_or_b64 s[16:17], vcc, s[16:17]
	v_or_b32_e32 v16, v20, v16
	s_andn2_b64 exec, exec, s[16:17]
	s_cbranch_execnz .LBB3_318
; %bb.319:                              ;   in Loop: Header=BB3_283 Depth=1
	s_or_b64 exec, exec, s[16:17]
.LBB3_320:                              ;   in Loop: Header=BB3_283 Depth=1
	s_or_b64 exec, exec, s[14:15]
	v_mov_b32_e32 v21, v7
	v_mov_b32_e32 v20, v6
                                        ; implicit-def: $vgpr19
.LBB3_321:                              ;   in Loop: Header=BB3_283 Depth=1
	s_or_saveexec_b64 s[4:5], s[4:5]
	v_mov_b32_e32 v22, 0
	s_xor_b64 exec, exec, s[4:5]
	s_cbranch_execz .LBB3_323
; %bb.322:                              ;   in Loop: Header=BB3_283 Depth=1
	global_load_dwordx2 v[16:17], v[6:7], off
	v_add_u32_e32 v22, -8, v19
.LBB3_323:                              ;   in Loop: Header=BB3_283 Depth=1
	s_or_b64 exec, exec, s[4:5]
	v_add_co_u32_e64 v6, s[4:5], 8, v20
	v_cmp_gt_u32_e32 vcc, 8, v22
	v_addc_co_u32_e64 v7, s[4:5], 0, v21, s[4:5]
                                        ; implicit-def: $vgpr18_vgpr19
	s_and_saveexec_b64 s[4:5], vcc
	s_xor_b64 s[4:5], exec, s[4:5]
	s_cbranch_execz .LBB3_329
; %bb.324:                              ;   in Loop: Header=BB3_283 Depth=1
	v_mov_b32_e32 v18, 0
	v_mov_b32_e32 v19, 0
	v_cmp_ne_u32_e32 vcc, 0, v22
	s_and_saveexec_b64 s[14:15], vcc
	s_cbranch_execz .LBB3_328
; %bb.325:                              ;   in Loop: Header=BB3_283 Depth=1
	v_mov_b32_e32 v18, 0
	s_mov_b64 s[16:17], 0
	v_mov_b32_e32 v19, 0
	s_mov_b64 s[18:19], 0
	s_mov_b64 s[20:21], 0
.LBB3_326:                              ;   Parent Loop BB3_283 Depth=1
                                        ; =>  This Inner Loop Header: Depth=2
	v_mov_b32_e32 v7, s21
	v_add_co_u32_e32 v6, vcc, s20, v20
	v_addc_co_u32_e32 v7, vcc, v21, v7, vcc
	global_load_ubyte v6, v[6:7], off
	s_add_u32 s20, s20, 1
	v_mov_b32_e32 v7, s22
	s_addc_u32 s21, s21, 0
	v_cmp_eq_u32_e32 vcc, s20, v22
	s_waitcnt vmcnt(0)
	v_and_b32_e32 v6, 0xffff, v6
	v_lshlrev_b64 v[6:7], s18, v[6:7]
	s_add_u32 s18, s18, 8
	s_addc_u32 s19, s19, 0
	v_or_b32_e32 v19, v7, v19
	s_or_b64 s[16:17], vcc, s[16:17]
	v_or_b32_e32 v18, v6, v18
	s_andn2_b64 exec, exec, s[16:17]
	s_cbranch_execnz .LBB3_326
; %bb.327:                              ;   in Loop: Header=BB3_283 Depth=1
	s_or_b64 exec, exec, s[16:17]
.LBB3_328:                              ;   in Loop: Header=BB3_283 Depth=1
	s_or_b64 exec, exec, s[14:15]
	v_mov_b32_e32 v6, v20
	v_mov_b32_e32 v7, v21
                                        ; implicit-def: $vgpr22
.LBB3_329:                              ;   in Loop: Header=BB3_283 Depth=1
	s_or_saveexec_b64 s[4:5], s[4:5]
	v_mov_b32_e32 v23, 0
	s_xor_b64 exec, exec, s[4:5]
	s_cbranch_execz .LBB3_331
; %bb.330:                              ;   in Loop: Header=BB3_283 Depth=1
	global_load_dwordx2 v[18:19], v[20:21], off
	v_add_u32_e32 v23, -8, v22
.LBB3_331:                              ;   in Loop: Header=BB3_283 Depth=1
	s_or_b64 exec, exec, s[4:5]
	v_cmp_gt_u32_e32 vcc, 8, v23
	s_and_saveexec_b64 s[4:5], vcc
	s_xor_b64 s[4:5], exec, s[4:5]
	s_cbranch_execz .LBB3_337
; %bb.332:                              ;   in Loop: Header=BB3_283 Depth=1
	v_mov_b32_e32 v20, 0
	v_mov_b32_e32 v21, 0
	v_cmp_ne_u32_e32 vcc, 0, v23
	s_and_saveexec_b64 s[14:15], vcc
	s_cbranch_execz .LBB3_336
; %bb.333:                              ;   in Loop: Header=BB3_283 Depth=1
	v_mov_b32_e32 v20, 0
	s_mov_b64 s[16:17], 0
	v_mov_b32_e32 v21, 0
	s_mov_b64 s[18:19], 0
.LBB3_334:                              ;   Parent Loop BB3_283 Depth=1
                                        ; =>  This Inner Loop Header: Depth=2
	global_load_ubyte v22, v[6:7], off
	v_mov_b32_e32 v25, s22
	v_add_co_u32_e32 v6, vcc, 1, v6
	v_add_u32_e32 v23, -1, v23
	v_addc_co_u32_e32 v7, vcc, 0, v7, vcc
	v_cmp_eq_u32_e32 vcc, 0, v23
	s_waitcnt vmcnt(0)
	v_and_b32_e32 v24, 0xffff, v22
	v_lshlrev_b64 v[24:25], s18, v[24:25]
	s_add_u32 s18, s18, 8
	s_addc_u32 s19, s19, 0
	v_or_b32_e32 v21, v25, v21
	s_or_b64 s[16:17], vcc, s[16:17]
	v_or_b32_e32 v20, v24, v20
	s_andn2_b64 exec, exec, s[16:17]
	s_cbranch_execnz .LBB3_334
; %bb.335:                              ;   in Loop: Header=BB3_283 Depth=1
	s_or_b64 exec, exec, s[16:17]
.LBB3_336:                              ;   in Loop: Header=BB3_283 Depth=1
	s_or_b64 exec, exec, s[14:15]
                                        ; implicit-def: $vgpr6_vgpr7
.LBB3_337:                              ;   in Loop: Header=BB3_283 Depth=1
	s_andn2_saveexec_b64 s[4:5], s[4:5]
	s_cbranch_execz .LBB3_339
; %bb.338:                              ;   in Loop: Header=BB3_283 Depth=1
	global_load_dwordx2 v[20:21], v[6:7], off
.LBB3_339:                              ;   in Loop: Header=BB3_283 Depth=1
	s_or_b64 exec, exec, s[4:5]
	v_readfirstlane_b32 s4, v34
	v_mov_b32_e32 v6, 0
	v_mov_b32_e32 v7, 0
	v_cmp_eq_u32_e64 s[4:5], s4, v34
	s_and_saveexec_b64 s[14:15], s[4:5]
	s_cbranch_execz .LBB3_345
; %bb.340:                              ;   in Loop: Header=BB3_283 Depth=1
	global_load_dwordx2 v[24:25], v29, s[10:11] offset:24 glc
	s_waitcnt vmcnt(0)
	buffer_wbinvl1_vol
	global_load_dwordx2 v[6:7], v29, s[10:11] offset:40
	global_load_dwordx2 v[22:23], v29, s[10:11]
	s_waitcnt vmcnt(1)
	v_and_b32_e32 v6, v6, v24
	v_and_b32_e32 v7, v7, v25
	v_mul_lo_u32 v7, v7, 24
	v_mul_hi_u32 v28, v6, 24
	v_mul_lo_u32 v6, v6, 24
	v_add_u32_e32 v7, v28, v7
	s_waitcnt vmcnt(0)
	v_add_co_u32_e32 v6, vcc, v22, v6
	v_addc_co_u32_e32 v7, vcc, v23, v7, vcc
	global_load_dwordx2 v[22:23], v[6:7], off glc
	s_waitcnt vmcnt(0)
	global_atomic_cmpswap_x2 v[6:7], v29, v[22:25], s[10:11] offset:24 glc
	s_waitcnt vmcnt(0)
	buffer_wbinvl1_vol
	v_cmp_ne_u64_e32 vcc, v[6:7], v[24:25]
	s_and_saveexec_b64 s[16:17], vcc
	s_cbranch_execz .LBB3_344
; %bb.341:                              ;   in Loop: Header=BB3_283 Depth=1
	s_mov_b64 s[18:19], 0
.LBB3_342:                              ;   Parent Loop BB3_283 Depth=1
                                        ; =>  This Inner Loop Header: Depth=2
	s_sleep 1
	global_load_dwordx2 v[22:23], v29, s[10:11] offset:40
	global_load_dwordx2 v[32:33], v29, s[10:11]
	v_mov_b32_e32 v25, v7
	v_mov_b32_e32 v24, v6
	s_waitcnt vmcnt(1)
	v_and_b32_e32 v6, v22, v24
	s_waitcnt vmcnt(0)
	v_mad_u64_u32 v[6:7], s[20:21], v6, 24, v[32:33]
	v_and_b32_e32 v22, v23, v25
	v_mad_u64_u32 v[22:23], s[20:21], v22, 24, v[7:8]
	v_mov_b32_e32 v7, v22
	global_load_dwordx2 v[22:23], v[6:7], off glc
	s_waitcnt vmcnt(0)
	global_atomic_cmpswap_x2 v[6:7], v29, v[22:25], s[10:11] offset:24 glc
	s_waitcnt vmcnt(0)
	buffer_wbinvl1_vol
	v_cmp_eq_u64_e32 vcc, v[6:7], v[24:25]
	s_or_b64 s[18:19], vcc, s[18:19]
	s_andn2_b64 exec, exec, s[18:19]
	s_cbranch_execnz .LBB3_342
; %bb.343:                              ;   in Loop: Header=BB3_283 Depth=1
	s_or_b64 exec, exec, s[18:19]
.LBB3_344:                              ;   in Loop: Header=BB3_283 Depth=1
	s_or_b64 exec, exec, s[16:17]
.LBB3_345:                              ;   in Loop: Header=BB3_283 Depth=1
	s_or_b64 exec, exec, s[14:15]
	global_load_dwordx2 v[32:33], v29, s[10:11] offset:40
	global_load_dwordx4 v[22:25], v29, s[10:11]
	v_readfirstlane_b32 s15, v7
	v_readfirstlane_b32 s14, v6
	s_mov_b64 s[16:17], exec
	s_waitcnt vmcnt(1)
	v_readfirstlane_b32 s18, v32
	v_readfirstlane_b32 s19, v33
	s_and_b64 s[18:19], s[18:19], s[14:15]
	s_mul_i32 s20, s19, 24
	s_mul_hi_u32 s21, s18, 24
	s_mul_i32 s24, s18, 24
	s_add_i32 s20, s21, s20
	v_mov_b32_e32 v6, s20
	s_waitcnt vmcnt(0)
	v_add_co_u32_e32 v32, vcc, s24, v22
	v_addc_co_u32_e32 v33, vcc, v23, v6, vcc
	s_and_saveexec_b64 s[20:21], s[4:5]
	s_cbranch_execz .LBB3_347
; %bb.346:                              ;   in Loop: Header=BB3_283 Depth=1
	v_mov_b32_e32 v6, s16
	v_mov_b32_e32 v7, s17
	global_store_dwordx4 v[32:33], v[6:9], off offset:8
.LBB3_347:                              ;   in Loop: Header=BB3_283 Depth=1
	s_or_b64 exec, exec, s[20:21]
	s_lshl_b64 s[16:17], s[18:19], 12
	v_mov_b32_e32 v6, s17
	v_add_co_u32_e32 v24, vcc, s16, v24
	v_addc_co_u32_e32 v25, vcc, v25, v6, vcc
	v_cmp_gt_u64_e32 vcc, 57, v[26:27]
	v_and_b32_e32 v0, 0xffffff1f, v0
	v_cndmask_b32_e32 v6, 0, v36, vcc
	v_lshl_add_u32 v7, v30, 2, 28
	v_or_b32_e32 v0, v0, v6
	v_and_or_b32 v0, v7, s23, v0
	v_readfirstlane_b32 s16, v24
	v_readfirstlane_b32 s17, v25
	s_nop 4
	global_store_dwordx4 v35, v[0:3], s[16:17]
	global_store_dwordx4 v35, v[10:13], s[16:17] offset:16
	global_store_dwordx4 v35, v[14:17], s[16:17] offset:32
	;; [unrolled: 1-line block ×3, first 2 shown]
	s_and_saveexec_b64 s[16:17], s[4:5]
	s_cbranch_execz .LBB3_355
; %bb.348:                              ;   in Loop: Header=BB3_283 Depth=1
	global_load_dwordx2 v[12:13], v29, s[10:11] offset:32 glc
	global_load_dwordx2 v[0:1], v29, s[10:11] offset:40
	v_mov_b32_e32 v10, s14
	v_mov_b32_e32 v11, s15
	s_waitcnt vmcnt(0)
	v_readfirstlane_b32 s18, v0
	v_readfirstlane_b32 s19, v1
	s_and_b64 s[18:19], s[18:19], s[14:15]
	s_mul_i32 s19, s19, 24
	s_mul_hi_u32 s20, s18, 24
	s_mul_i32 s18, s18, 24
	s_add_i32 s19, s20, s19
	v_mov_b32_e32 v0, s19
	v_add_co_u32_e32 v6, vcc, s18, v22
	v_addc_co_u32_e32 v7, vcc, v23, v0, vcc
	global_store_dwordx2 v[6:7], v[12:13], off
	s_waitcnt vmcnt(0)
	global_atomic_cmpswap_x2 v[2:3], v29, v[10:13], s[10:11] offset:32 glc
	s_waitcnt vmcnt(0)
	v_cmp_ne_u64_e32 vcc, v[2:3], v[12:13]
	s_and_saveexec_b64 s[18:19], vcc
	s_cbranch_execz .LBB3_351
; %bb.349:                              ;   in Loop: Header=BB3_283 Depth=1
	s_mov_b64 s[20:21], 0
.LBB3_350:                              ;   Parent Loop BB3_283 Depth=1
                                        ; =>  This Inner Loop Header: Depth=2
	s_sleep 1
	global_store_dwordx2 v[6:7], v[2:3], off
	v_mov_b32_e32 v0, s14
	v_mov_b32_e32 v1, s15
	s_waitcnt vmcnt(0)
	global_atomic_cmpswap_x2 v[0:1], v29, v[0:3], s[10:11] offset:32 glc
	s_waitcnt vmcnt(0)
	v_cmp_eq_u64_e32 vcc, v[0:1], v[2:3]
	v_mov_b32_e32 v3, v1
	s_or_b64 s[20:21], vcc, s[20:21]
	v_mov_b32_e32 v2, v0
	s_andn2_b64 exec, exec, s[20:21]
	s_cbranch_execnz .LBB3_350
.LBB3_351:                              ;   in Loop: Header=BB3_283 Depth=1
	s_or_b64 exec, exec, s[18:19]
	global_load_dwordx2 v[0:1], v29, s[10:11] offset:16
	s_mov_b64 s[20:21], exec
	v_mbcnt_lo_u32_b32 v2, s20, 0
	v_mbcnt_hi_u32_b32 v2, s21, v2
	v_cmp_eq_u32_e32 vcc, 0, v2
	s_and_saveexec_b64 s[18:19], vcc
	s_cbranch_execz .LBB3_353
; %bb.352:                              ;   in Loop: Header=BB3_283 Depth=1
	s_bcnt1_i32_b64 s20, s[20:21]
	v_mov_b32_e32 v28, s20
	s_waitcnt vmcnt(0)
	global_atomic_add_x2 v[0:1], v[28:29], off offset:8
.LBB3_353:                              ;   in Loop: Header=BB3_283 Depth=1
	s_or_b64 exec, exec, s[18:19]
	s_waitcnt vmcnt(0)
	global_load_dwordx2 v[2:3], v[0:1], off offset:16
	s_waitcnt vmcnt(0)
	v_cmp_eq_u64_e32 vcc, 0, v[2:3]
	s_cbranch_vccnz .LBB3_355
; %bb.354:                              ;   in Loop: Header=BB3_283 Depth=1
	global_load_dword v28, v[0:1], off offset:24
	s_waitcnt vmcnt(0)
	v_readfirstlane_b32 s18, v28
	s_and_b32 m0, s18, 0xffffff
	global_store_dwordx2 v[2:3], v[28:29], off
	s_sendmsg sendmsg(MSG_INTERRUPT)
.LBB3_355:                              ;   in Loop: Header=BB3_283 Depth=1
	s_or_b64 exec, exec, s[16:17]
	v_add_co_u32_e32 v0, vcc, v24, v35
	v_addc_co_u32_e32 v1, vcc, 0, v25, vcc
	s_branch .LBB3_359
.LBB3_356:                              ;   in Loop: Header=BB3_359 Depth=2
	s_or_b64 exec, exec, s[16:17]
	v_readfirstlane_b32 s16, v2
	s_cmp_eq_u32 s16, 0
	s_cbranch_scc1 .LBB3_358
; %bb.357:                              ;   in Loop: Header=BB3_359 Depth=2
	s_sleep 1
	s_cbranch_execnz .LBB3_359
	s_branch .LBB3_361
.LBB3_358:                              ;   in Loop: Header=BB3_283 Depth=1
	s_branch .LBB3_361
.LBB3_359:                              ;   Parent Loop BB3_283 Depth=1
                                        ; =>  This Inner Loop Header: Depth=2
	v_mov_b32_e32 v2, 1
	s_and_saveexec_b64 s[16:17], s[4:5]
	s_cbranch_execz .LBB3_356
; %bb.360:                              ;   in Loop: Header=BB3_359 Depth=2
	global_load_dword v2, v[32:33], off offset:20 glc
	s_waitcnt vmcnt(0)
	buffer_wbinvl1_vol
	v_and_b32_e32 v2, 1, v2
	s_branch .LBB3_356
.LBB3_361:                              ;   in Loop: Header=BB3_283 Depth=1
	global_load_dwordx2 v[0:1], v[0:1], off
	s_and_saveexec_b64 s[16:17], s[4:5]
	s_cbranch_execz .LBB3_282
; %bb.362:                              ;   in Loop: Header=BB3_283 Depth=1
	global_load_dwordx2 v[2:3], v29, s[10:11] offset:40
	global_load_dwordx2 v[14:15], v29, s[10:11] offset:24 glc
	global_load_dwordx2 v[6:7], v29, s[10:11]
	s_waitcnt vmcnt(2)
	v_readfirstlane_b32 s18, v2
	v_readfirstlane_b32 s19, v3
	s_add_u32 s20, s18, 1
	s_addc_u32 s21, s19, 0
	s_add_u32 s4, s20, s14
	s_addc_u32 s5, s21, s15
	s_cmp_eq_u64 s[4:5], 0
	s_cselect_b32 s5, s21, s5
	s_cselect_b32 s4, s20, s4
	s_and_b64 s[14:15], s[4:5], s[18:19]
	s_mul_i32 s15, s15, 24
	s_mul_hi_u32 s18, s14, 24
	s_mul_i32 s14, s14, 24
	s_add_i32 s15, s18, s15
	v_mov_b32_e32 v3, s15
	s_waitcnt vmcnt(0)
	v_add_co_u32_e32 v2, vcc, s14, v6
	v_addc_co_u32_e32 v3, vcc, v7, v3, vcc
	v_mov_b32_e32 v12, s4
	global_store_dwordx2 v[2:3], v[14:15], off
	v_mov_b32_e32 v13, s5
	s_waitcnt vmcnt(0)
	global_atomic_cmpswap_x2 v[12:13], v29, v[12:15], s[10:11] offset:24 glc
	s_waitcnt vmcnt(0)
	v_cmp_ne_u64_e32 vcc, v[12:13], v[14:15]
	s_and_b64 exec, exec, vcc
	s_cbranch_execz .LBB3_282
; %bb.363:                              ;   in Loop: Header=BB3_283 Depth=1
	s_mov_b64 s[14:15], 0
.LBB3_364:                              ;   Parent Loop BB3_283 Depth=1
                                        ; =>  This Inner Loop Header: Depth=2
	s_sleep 1
	global_store_dwordx2 v[2:3], v[12:13], off
	v_mov_b32_e32 v10, s4
	v_mov_b32_e32 v11, s5
	s_waitcnt vmcnt(0)
	global_atomic_cmpswap_x2 v[6:7], v29, v[10:13], s[10:11] offset:24 glc
	s_waitcnt vmcnt(0)
	v_cmp_eq_u64_e32 vcc, v[6:7], v[12:13]
	v_mov_b32_e32 v13, v7
	s_or_b64 s[14:15], vcc, s[14:15]
	v_mov_b32_e32 v12, v6
	s_andn2_b64 exec, exec, s[14:15]
	s_cbranch_execnz .LBB3_364
	s_branch .LBB3_282
.LBB3_365:
	s_or_b64 exec, exec, s[12:13]
                                        ; implicit-def: $vgpr35
                                        ; implicit-def: $vgpr34
.LBB3_366:
	s_andn2_saveexec_b64 s[6:7], s[6:7]
	s_cbranch_execz .LBB3_393
; %bb.367:
	v_readfirstlane_b32 s4, v34
	v_mov_b32_e32 v8, 0
	v_mov_b32_e32 v9, 0
	v_cmp_eq_u32_e64 s[4:5], s4, v34
	s_and_saveexec_b64 s[12:13], s[4:5]
	s_cbranch_execz .LBB3_373
; %bb.368:
	v_mov_b32_e32 v2, 0
	global_load_dwordx2 v[5:6], v2, s[10:11] offset:24 glc
	s_waitcnt vmcnt(0)
	buffer_wbinvl1_vol
	global_load_dwordx2 v[3:4], v2, s[10:11] offset:40
	global_load_dwordx2 v[7:8], v2, s[10:11]
	s_waitcnt vmcnt(1)
	v_and_b32_e32 v3, v3, v5
	v_and_b32_e32 v4, v4, v6
	v_mul_lo_u32 v4, v4, 24
	v_mul_hi_u32 v9, v3, 24
	v_mul_lo_u32 v3, v3, 24
	v_add_u32_e32 v4, v9, v4
	s_waitcnt vmcnt(0)
	v_add_co_u32_e32 v3, vcc, v7, v3
	v_addc_co_u32_e32 v4, vcc, v8, v4, vcc
	global_load_dwordx2 v[3:4], v[3:4], off glc
	s_waitcnt vmcnt(0)
	global_atomic_cmpswap_x2 v[8:9], v2, v[3:6], s[10:11] offset:24 glc
	s_waitcnt vmcnt(0)
	buffer_wbinvl1_vol
	v_cmp_ne_u64_e32 vcc, v[8:9], v[5:6]
	s_and_saveexec_b64 s[14:15], vcc
	s_cbranch_execz .LBB3_372
; %bb.369:
	s_mov_b64 s[16:17], 0
.LBB3_370:                              ; =>This Inner Loop Header: Depth=1
	s_sleep 1
	global_load_dwordx2 v[3:4], v2, s[10:11] offset:40
	global_load_dwordx2 v[10:11], v2, s[10:11]
	v_mov_b32_e32 v5, v8
	v_mov_b32_e32 v6, v9
	s_waitcnt vmcnt(1)
	v_and_b32_e32 v3, v3, v5
	s_waitcnt vmcnt(0)
	v_mad_u64_u32 v[7:8], s[18:19], v3, 24, v[10:11]
	v_and_b32_e32 v4, v4, v6
	v_mov_b32_e32 v3, v8
	v_mad_u64_u32 v[3:4], s[18:19], v4, 24, v[3:4]
	v_mov_b32_e32 v8, v3
	global_load_dwordx2 v[3:4], v[7:8], off glc
	s_waitcnt vmcnt(0)
	global_atomic_cmpswap_x2 v[8:9], v2, v[3:6], s[10:11] offset:24 glc
	s_waitcnt vmcnt(0)
	buffer_wbinvl1_vol
	v_cmp_eq_u64_e32 vcc, v[8:9], v[5:6]
	s_or_b64 s[16:17], vcc, s[16:17]
	s_andn2_b64 exec, exec, s[16:17]
	s_cbranch_execnz .LBB3_370
; %bb.371:
	s_or_b64 exec, exec, s[16:17]
.LBB3_372:
	s_or_b64 exec, exec, s[14:15]
.LBB3_373:
	s_or_b64 exec, exec, s[12:13]
	v_mov_b32_e32 v2, 0
	global_load_dwordx2 v[10:11], v2, s[10:11] offset:40
	global_load_dwordx4 v[4:7], v2, s[10:11]
	v_readfirstlane_b32 s13, v9
	v_readfirstlane_b32 s12, v8
	s_mov_b64 s[14:15], exec
	s_waitcnt vmcnt(1)
	v_readfirstlane_b32 s16, v10
	v_readfirstlane_b32 s17, v11
	s_and_b64 s[16:17], s[16:17], s[12:13]
	s_mul_i32 s18, s17, 24
	s_mul_hi_u32 s19, s16, 24
	s_mul_i32 s20, s16, 24
	s_add_i32 s18, s19, s18
	v_mov_b32_e32 v3, s18
	s_waitcnt vmcnt(0)
	v_add_co_u32_e32 v8, vcc, s20, v4
	v_addc_co_u32_e32 v9, vcc, v5, v3, vcc
	s_and_saveexec_b64 s[18:19], s[4:5]
	s_cbranch_execz .LBB3_375
; %bb.374:
	v_mov_b32_e32 v10, s14
	v_mov_b32_e32 v11, s15
	;; [unrolled: 1-line block ×4, first 2 shown]
	global_store_dwordx4 v[8:9], v[10:13], off offset:8
.LBB3_375:
	s_or_b64 exec, exec, s[18:19]
	s_lshl_b64 s[14:15], s[16:17], 12
	v_mov_b32_e32 v3, s15
	v_add_co_u32_e32 v10, vcc, s14, v6
	v_addc_co_u32_e32 v11, vcc, v7, v3, vcc
	s_movk_i32 s14, 0xff1f
	v_and_or_b32 v0, v0, s14, 32
	s_mov_b32 s16, 0
	v_mov_b32_e32 v3, v2
	v_readfirstlane_b32 s14, v10
	v_readfirstlane_b32 s15, v11
	v_add_co_u32_e32 v6, vcc, v10, v35
	s_mov_b32 s17, s16
	s_mov_b32 s18, s16
	;; [unrolled: 1-line block ×3, first 2 shown]
	s_nop 0
	global_store_dwordx4 v35, v[0:3], s[14:15]
	v_addc_co_u32_e32 v7, vcc, 0, v11, vcc
	v_mov_b32_e32 v0, s16
	v_mov_b32_e32 v1, s17
	;; [unrolled: 1-line block ×4, first 2 shown]
	global_store_dwordx4 v35, v[0:3], s[14:15] offset:16
	global_store_dwordx4 v35, v[0:3], s[14:15] offset:32
	;; [unrolled: 1-line block ×3, first 2 shown]
	s_and_saveexec_b64 s[14:15], s[4:5]
	s_cbranch_execz .LBB3_383
; %bb.376:
	v_mov_b32_e32 v10, 0
	global_load_dwordx2 v[13:14], v10, s[10:11] offset:32 glc
	global_load_dwordx2 v[0:1], v10, s[10:11] offset:40
	v_mov_b32_e32 v11, s12
	v_mov_b32_e32 v12, s13
	s_waitcnt vmcnt(0)
	v_readfirstlane_b32 s16, v0
	v_readfirstlane_b32 s17, v1
	s_and_b64 s[16:17], s[16:17], s[12:13]
	s_mul_i32 s17, s17, 24
	s_mul_hi_u32 s18, s16, 24
	s_mul_i32 s16, s16, 24
	s_add_i32 s17, s18, s17
	v_mov_b32_e32 v0, s17
	v_add_co_u32_e32 v4, vcc, s16, v4
	v_addc_co_u32_e32 v5, vcc, v5, v0, vcc
	global_store_dwordx2 v[4:5], v[13:14], off
	s_waitcnt vmcnt(0)
	global_atomic_cmpswap_x2 v[2:3], v10, v[11:14], s[10:11] offset:32 glc
	s_waitcnt vmcnt(0)
	v_cmp_ne_u64_e32 vcc, v[2:3], v[13:14]
	s_and_saveexec_b64 s[16:17], vcc
	s_cbranch_execz .LBB3_379
; %bb.377:
	s_mov_b64 s[18:19], 0
.LBB3_378:                              ; =>This Inner Loop Header: Depth=1
	s_sleep 1
	global_store_dwordx2 v[4:5], v[2:3], off
	v_mov_b32_e32 v0, s12
	v_mov_b32_e32 v1, s13
	s_waitcnt vmcnt(0)
	global_atomic_cmpswap_x2 v[0:1], v10, v[0:3], s[10:11] offset:32 glc
	s_waitcnt vmcnt(0)
	v_cmp_eq_u64_e32 vcc, v[0:1], v[2:3]
	v_mov_b32_e32 v3, v1
	s_or_b64 s[18:19], vcc, s[18:19]
	v_mov_b32_e32 v2, v0
	s_andn2_b64 exec, exec, s[18:19]
	s_cbranch_execnz .LBB3_378
.LBB3_379:
	s_or_b64 exec, exec, s[16:17]
	v_mov_b32_e32 v3, 0
	global_load_dwordx2 v[0:1], v3, s[10:11] offset:16
	s_mov_b64 s[16:17], exec
	v_mbcnt_lo_u32_b32 v2, s16, 0
	v_mbcnt_hi_u32_b32 v2, s17, v2
	v_cmp_eq_u32_e32 vcc, 0, v2
	s_and_saveexec_b64 s[18:19], vcc
	s_cbranch_execz .LBB3_381
; %bb.380:
	s_bcnt1_i32_b64 s16, s[16:17]
	v_mov_b32_e32 v2, s16
	s_waitcnt vmcnt(0)
	global_atomic_add_x2 v[0:1], v[2:3], off offset:8
.LBB3_381:
	s_or_b64 exec, exec, s[18:19]
	s_waitcnt vmcnt(0)
	global_load_dwordx2 v[2:3], v[0:1], off offset:16
	s_waitcnt vmcnt(0)
	v_cmp_eq_u64_e32 vcc, 0, v[2:3]
	s_cbranch_vccnz .LBB3_383
; %bb.382:
	global_load_dword v0, v[0:1], off offset:24
	v_mov_b32_e32 v1, 0
	s_waitcnt vmcnt(0)
	v_readfirstlane_b32 s16, v0
	s_and_b32 m0, s16, 0xffffff
	global_store_dwordx2 v[2:3], v[0:1], off
	s_sendmsg sendmsg(MSG_INTERRUPT)
.LBB3_383:
	s_or_b64 exec, exec, s[14:15]
	s_branch .LBB3_387
.LBB3_384:                              ;   in Loop: Header=BB3_387 Depth=1
	s_or_b64 exec, exec, s[14:15]
	v_readfirstlane_b32 s14, v0
	s_cmp_eq_u32 s14, 0
	s_cbranch_scc1 .LBB3_386
; %bb.385:                              ;   in Loop: Header=BB3_387 Depth=1
	s_sleep 1
	s_cbranch_execnz .LBB3_387
	s_branch .LBB3_389
.LBB3_386:
	s_branch .LBB3_389
.LBB3_387:                              ; =>This Inner Loop Header: Depth=1
	v_mov_b32_e32 v0, 1
	s_and_saveexec_b64 s[14:15], s[4:5]
	s_cbranch_execz .LBB3_384
; %bb.388:                              ;   in Loop: Header=BB3_387 Depth=1
	global_load_dword v0, v[8:9], off offset:20 glc
	s_waitcnt vmcnt(0)
	buffer_wbinvl1_vol
	v_and_b32_e32 v0, 1, v0
	s_branch .LBB3_384
.LBB3_389:
	global_load_dwordx2 v[0:1], v[6:7], off
	s_and_saveexec_b64 s[14:15], s[4:5]
	s_cbranch_execz .LBB3_392
; %bb.390:
	v_mov_b32_e32 v8, 0
	global_load_dwordx2 v[2:3], v8, s[10:11] offset:40
	global_load_dwordx2 v[11:12], v8, s[10:11] offset:24 glc
	global_load_dwordx2 v[4:5], v8, s[10:11]
	s_waitcnt vmcnt(2)
	v_readfirstlane_b32 s16, v2
	v_readfirstlane_b32 s17, v3
	s_add_u32 s18, s16, 1
	s_addc_u32 s19, s17, 0
	s_add_u32 s4, s18, s12
	s_addc_u32 s5, s19, s13
	s_cmp_eq_u64 s[4:5], 0
	s_cselect_b32 s5, s19, s5
	s_cselect_b32 s4, s18, s4
	s_and_b64 s[12:13], s[4:5], s[16:17]
	s_mul_i32 s13, s13, 24
	s_mul_hi_u32 s16, s12, 24
	s_mul_i32 s12, s12, 24
	s_add_i32 s13, s16, s13
	v_mov_b32_e32 v2, s13
	s_waitcnt vmcnt(0)
	v_add_co_u32_e32 v6, vcc, s12, v4
	v_addc_co_u32_e32 v7, vcc, v5, v2, vcc
	v_mov_b32_e32 v9, s4
	global_store_dwordx2 v[6:7], v[11:12], off
	v_mov_b32_e32 v10, s5
	s_waitcnt vmcnt(0)
	global_atomic_cmpswap_x2 v[4:5], v8, v[9:12], s[10:11] offset:24 glc
	s_mov_b64 s[12:13], 0
	s_waitcnt vmcnt(0)
	v_cmp_ne_u64_e32 vcc, v[4:5], v[11:12]
	s_and_b64 exec, exec, vcc
	s_cbranch_execz .LBB3_392
.LBB3_391:                              ; =>This Inner Loop Header: Depth=1
	s_sleep 1
	global_store_dwordx2 v[6:7], v[4:5], off
	v_mov_b32_e32 v2, s4
	v_mov_b32_e32 v3, s5
	s_waitcnt vmcnt(0)
	global_atomic_cmpswap_x2 v[2:3], v8, v[2:5], s[10:11] offset:24 glc
	s_waitcnt vmcnt(0)
	v_cmp_eq_u64_e32 vcc, v[2:3], v[4:5]
	v_mov_b32_e32 v5, v3
	s_or_b64 s[12:13], vcc, s[12:13]
	v_mov_b32_e32 v4, v2
	s_andn2_b64 exec, exec, s[12:13]
	s_cbranch_execnz .LBB3_391
.LBB3_392:
	s_or_b64 exec, exec, s[14:15]
.LBB3_393:
	s_or_b64 exec, exec, s[6:7]
	s_getpc_b64 s[4:5]
	s_add_u32 s4, s4, .str.4@rel32@lo+4
	s_addc_u32 s5, s5, .str.4@rel32@hi+12
	s_getpc_b64 s[6:7]
	s_add_u32 s6, s6, .str.4@rel32@lo+32
	s_addc_u32 s7, s7, .str.4@rel32@hi+40
	s_sub_i32 s10, s6, s4
	s_ashr_i32 s11, s10, 31
	s_getpc_b64 s[6:7]
	s_add_u32 s6, s6, __ockl_fprintf_append_string_n@rel32@lo+4
	s_addc_u32 s7, s7, __ockl_fprintf_append_string_n@rel32@hi+12
	v_mov_b32_e32 v2, s4
	v_mov_b32_e32 v3, s5
	;; [unrolled: 1-line block ×5, first 2 shown]
	s_swappc_b64 s[30:31], s[6:7]
	s_trap 2
.Lfunc_end3:
	.size	__assert_fail, .Lfunc_end3-__assert_fail
                                        ; -- End function
	.set .L__assert_fail.num_vgpr, max(41, .L__ockl_fprintf_append_string_n.num_vgpr)
	.set .L__assert_fail.num_agpr, max(0, .L__ockl_fprintf_append_string_n.num_agpr)
	.set .L__assert_fail.numbered_sgpr, max(34, .L__ockl_fprintf_append_string_n.numbered_sgpr)
	.set .L__assert_fail.num_named_barrier, max(0, .L__ockl_fprintf_append_string_n.num_named_barrier)
	.set .L__assert_fail.private_seg_size, 64+max(.L__ockl_fprintf_append_string_n.private_seg_size)
	.set .L__assert_fail.uses_vcc, or(1, .L__ockl_fprintf_append_string_n.uses_vcc)
	.set .L__assert_fail.uses_flat_scratch, or(0, .L__ockl_fprintf_append_string_n.uses_flat_scratch)
	.set .L__assert_fail.has_dyn_sized_stack, or(0, .L__ockl_fprintf_append_string_n.has_dyn_sized_stack)
	.set .L__assert_fail.has_recursion, or(0, .L__ockl_fprintf_append_string_n.has_recursion)
	.set .L__assert_fail.has_indirect_call, or(0, .L__ockl_fprintf_append_string_n.has_indirect_call)
	.section	.AMDGPU.csdata,"",@progbits
; Function info:
; codeLenInByte = 13844
; TotalNumSgprs: 38
; NumVgprs: 41
; ScratchSize: 64
; MemoryBound: 0
	.text
	.p2align	2                               ; -- Begin function _ZN12_GLOBAL__N_17runRingIa7FuncSumIaE11ProtoSimpleILi2ELi2ELi0ELi1ELi0ELi0EELi0ELi1ELi0ELb0EEEviiP15ncclDevWorkColl
	.type	_ZN12_GLOBAL__N_17runRingIa7FuncSumIaE11ProtoSimpleILi2ELi2ELi0ELi1ELi0ELi0EELi0ELi1ELi0ELb0EEEviiP15ncclDevWorkColl,@function
_ZN12_GLOBAL__N_17runRingIa7FuncSumIaE11ProtoSimpleILi2ELi2ELi0ELi1ELi0ELi0EELi0ELi1ELi0ELb0EEEviiP15ncclDevWorkColl: ; @_ZN12_GLOBAL__N_17runRingIa7FuncSumIaE11ProtoSimpleILi2ELi2ELi0ELi1ELi0ELi0EELi0ELi1ELi0ELb0EEEviiP15ncclDevWorkColl
; %bb.0:
	s_waitcnt vmcnt(0) expcnt(0) lgkmcnt(0)
	s_mov_b32 s4, s33
	s_mov_b32 s33, s32
	s_or_saveexec_b64 s[6:7], -1
	buffer_store_dword v63, off, s[0:3], s33 offset:216 ; 4-byte Folded Spill
	s_mov_b64 exec, s[6:7]
	v_writelane_b32 v63, s4, 19
	s_addk_i32 s32, 0x3800
	buffer_store_dword v40, off, s[0:3], s33 offset:56 ; 4-byte Folded Spill
	buffer_store_dword v41, off, s[0:3], s33 offset:52 ; 4-byte Folded Spill
	;; [unrolled: 1-line block ×14, first 2 shown]
	buffer_store_dword v62, off, s[0:3], s33 ; 4-byte Folded Spill
	v_writelane_b32 v63, s34, 0
	v_writelane_b32 v63, s35, 1
	;; [unrolled: 1-line block ×19, first 2 shown]
	s_trap 2
	flat_load_dword v5, v[2:3]
	flat_load_dwordx4 v[17:20], v[2:3] offset:72
	flat_load_dwordx2 v[12:13], v[2:3] offset:88
	v_mov_b32_e32 v16, v1
	v_mov_b32_e32 v62, v0
	ds_read_b32 v1, v0
                                        ; implicit-def: $vgpr34_vgpr35
	s_waitcnt lgkmcnt(0)
	v_readfirstlane_b32 s52, v1
	s_waitcnt vmcnt(0)
	v_not_b32_sdwa v4, v5 dst_sel:DWORD dst_unused:UNUSED_PAD src0_sel:BYTE_0
	v_add_u32_sdwa v0, v5, v4 dst_sel:DWORD dst_unused:UNUSED_PAD src0_sel:BYTE_1 src1_sel:DWORD
	v_ashrrev_i32_e32 v6, 31, v0
	v_mul_lo_u32 v7, v20, v0
	v_mad_u64_u32 v[14:15], s[4:5], v19, v0, 0
	v_mul_lo_u32 v0, v19, v6
	v_cmp_ne_u32_sdwa s[4:5], v1, v5 src0_sel:DWORD src1_sel:BYTE_0
	ds_read_b64 v[8:9], v0
	v_add3_u32 v0, v15, v0, v7
	s_waitcnt lgkmcnt(0)
	buffer_store_dword v8, off, s[0:3], s33 offset:100 ; 4-byte Folded Spill
	s_nop 0
	buffer_store_dword v9, off, s[0:3], s33 offset:104 ; 4-byte Folded Spill
                                        ; implicit-def: $vgpr6_vgpr7
                                        ; kill: killed $vgpr6_vgpr7
	s_and_saveexec_b64 s[6:7], s[4:5]
	s_xor_b64 s[4:5], exec, s[6:7]
	s_cbranch_execz .LBB4_6
; %bb.1:
	v_cmp_ne_u32_sdwa s[6:7], v1, v5 src0_sel:DWORD src1_sel:BYTE_1
                                        ; implicit-def: $vgpr34_vgpr35
                                        ; implicit-def: $vgpr5_vgpr6
                                        ; kill: killed $vgpr5_vgpr6
	s_and_saveexec_b64 s[10:11], s[6:7]
	s_xor_b64 s[6:7], exec, s[10:11]
	s_cbranch_execz .LBB4_3
; %bb.2:
	flat_load_dwordx2 v[5:6], v[2:3] offset:96
	v_add_u32_e32 v1, v1, v4
	v_ashrrev_i32_e32 v4, 31, v1
	v_mul_lo_u32 v4, v19, v4
	v_mul_lo_u32 v7, v20, v1
	v_mad_u64_u32 v[8:9], s[10:11], v19, v1, v[17:18]
	v_add3_u32 v9, v7, v9, v4
	buffer_store_dword v8, off, s[0:3], s33 offset:136 ; 4-byte Folded Spill
	s_nop 0
	buffer_store_dword v9, off, s[0:3], s33 offset:140 ; 4-byte Folded Spill
	s_waitcnt vmcnt(0) lgkmcnt(0)
	v_lshrrev_b64 v[34:35], 21, v[5:6]
.LBB4_3:
	s_andn2_saveexec_b64 s[6:7], s[6:7]
	s_cbranch_execz .LBB4_5
; %bb.4:
	flat_load_dword v1, v[2:3] offset:100
	v_add_co_u32_e32 v4, vcc, v14, v17
	v_mov_b32_e32 v20, v13
	v_addc_co_u32_e32 v5, vcc, v0, v18, vcc
	v_mov_b32_e32 v19, v12
	buffer_store_dword v4, off, s[0:3], s33 offset:136 ; 4-byte Folded Spill
	s_nop 0
	buffer_store_dword v5, off, s[0:3], s33 offset:140 ; 4-byte Folded Spill
	s_waitcnt vmcnt(0) lgkmcnt(0)
	v_lshrrev_b32_e32 v34, 10, v1
.LBB4_5:
	s_or_b64 exec, exec, s[6:7]
.LBB4_6:
	s_andn2_saveexec_b64 s[4:5], s[4:5]
	s_cbranch_execz .LBB4_8
; %bb.7:
	flat_load_dwordx2 v[34:35], v[2:3] offset:96
	v_mov_b32_e32 v4, 0
	v_mov_b32_e32 v20, v18
	;; [unrolled: 1-line block ×4, first 2 shown]
	buffer_store_dword v4, off, s[0:3], s33 offset:136 ; 4-byte Folded Spill
	s_nop 0
	buffer_store_dword v5, off, s[0:3], s33 offset:140 ; 4-byte Folded Spill
.LBB4_8:
	s_or_b64 exec, exec, s[4:5]
	s_waitcnt vmcnt(0) lgkmcnt(0)
	flat_load_dwordx4 v[35:38], v[2:3] offset:16
	v_add_co_u32_e32 v1, vcc, v12, v17
	v_addc_co_u32_e32 v4, vcc, v13, v18, vcc
	v_add_co_u32_e32 v1, vcc, v1, v14
	v_addc_co_u32_e32 v0, vcc, v4, v0, vcc
	v_cmp_ge_i32_e32 vcc, v62, v16
	buffer_store_dword v1, off, s[0:3], s33 offset:108 ; 4-byte Folded Spill
	buffer_store_dword v0, off, s[0:3], s33 offset:112 ; 4-byte Folded Spill
	s_and_saveexec_b64 s[4:5], vcc
	s_xor_b64 s[6:7], exec, s[4:5]
	s_cbranch_execz .LBB4_33
; %bb.9:
	buffer_load_dword v0, off, s[0:3], s33 offset:100 ; 4-byte Folded Reload
	buffer_load_dword v1, off, s[0:3], s33 offset:104 ; 4-byte Folded Reload
	;; [unrolled: 1-line block ×4, first 2 shown]
	s_waitcnt vmcnt(0)
	flat_load_dword v0, v[0:1]
	s_waitcnt vmcnt(0) lgkmcnt(0)
	v_ashrrev_i32_e32 v1, 31, v0
	v_mul_lo_u32 v4, v2, v0
	v_mad_u64_u32 v[2:3], s[4:5], v5, v0, 0
	v_mul_lo_u32 v0, v5, v1
	v_add3_u32 v3, v3, v0, v4
	v_add_co_u32_e32 v0, vcc, v35, v2
	v_addc_co_u32_e32 v1, vcc, v36, v3, vcc
	v_cmp_ne_u64_e32 vcc, v[37:38], v[0:1]
	s_and_saveexec_b64 s[10:11], vcc
	s_cbranch_execz .LBB4_32
; %bb.10:
	buffer_load_dword v0, off, s[0:3], s33 offset:136 ; 4-byte Folded Reload
	buffer_load_dword v1, off, s[0:3], s33 offset:140 ; 4-byte Folded Reload
	v_sub_u32_e32 v6, v62, v16
	s_mov_b64 s[14:15], 0
	s_mov_b64 s[16:17], 0
	s_waitcnt vmcnt(1)
	v_add_co_u32_e32 v12, vcc, v37, v0
	s_waitcnt vmcnt(0)
	v_addc_co_u32_e32 v13, vcc, v38, v1, vcc
	v_add_co_u32_e32 v0, vcc, v35, v0
	v_addc_co_u32_e32 v1, vcc, v36, v1, vcc
	v_add_co_u32_e32 v14, vcc, v0, v2
	v_ashrrev_i16_e32 v0, 15, v6
	v_lshrrev_b16_e32 v0, 10, v0
	v_addc_co_u32_e32 v15, vcc, v1, v3, vcc
	v_add_u16_e32 v1, v6, v0
	v_and_b32_e32 v0, 0xffffffc0, v1
	v_sub_u16_e32 v0, v6, v0
	v_cmp_gt_i16_e32 vcc, 1, v0
	s_and_saveexec_b64 s[4:5], vcc
; %bb.11:
	v_or_b32_e32 v2, v12, v14
	v_and_b32_e32 v2, 15, v2
	v_cmp_ne_u32_e32 vcc, 0, v2
	s_and_b64 s[16:17], vcc, exec
; %bb.12:
	s_or_b64 exec, exec, s[4:5]
	v_ashrrev_i16_e32 v16, 6, v1
	v_cndmask_b32_e64 v1, 0, 1, s[16:17]
	v_cmp_ne_u32_e32 vcc, 0, v1
	s_cbranch_vccz .LBB4_14
; %bb.13:
	v_mov_b32_e32 v2, 0
	s_mov_b64 s[18:19], -1
	v_mov_b32_e32 v3, 0
	s_mov_b64 s[4:5], 0
                                        ; implicit-def: $vgpr4_vgpr5
                                        ; implicit-def: $vgpr0_vgpr1
                                        ; implicit-def: $vgpr17
	s_and_saveexec_b64 s[16:17], s[18:19]
	s_cbranch_execnz .LBB4_23
	s_branch .LBB4_26
.LBB4_14:
	v_bfe_i32 v17, v0, 0, 16
	v_ashrrev_i32_e32 v0, 31, v20
	v_lshrrev_b32_e32 v0, 21, v0
	v_add_co_u32_e32 v0, vcc, v19, v0
	v_addc_co_u32_e32 v1, vcc, 0, v20, vcc
	v_ashrrev_i64 v[8:9], 11, v[0:1]
	v_bfe_i32 v0, v16, 0, 16
	v_ashrrev_i32_e32 v1, 31, v0
	v_sub_co_u32_e32 v10, vcc, v8, v0
	v_subb_co_u32_e32 v11, vcc, v9, v1, vcc
	v_cmp_gt_i64_e32 vcc, 1, v[10:11]
	v_mov_b32_e32 v2, 0
	s_mov_b64 s[18:19], 0
	s_mov_b64 s[4:5], -1
	v_mov_b32_e32 v3, 0
                                        ; implicit-def: $vgpr4_vgpr5
                                        ; implicit-def: $vgpr0_vgpr1
                                        ; implicit-def: $vgpr6
	s_and_saveexec_b64 s[16:17], vcc
	s_cbranch_execz .LBB4_22
; %bb.15:
	v_lshlrev_b64 v[0:1], 11, v[8:9]
	v_mov_b32_e32 v2, 0
	v_cmp_ne_u64_e32 vcc, v[19:20], v[0:1]
	v_mov_b32_e32 v3, 0
	s_mov_b64 s[20:21], 0
                                        ; implicit-def: $vgpr4_vgpr5
                                        ; implicit-def: $vgpr8_vgpr9
                                        ; implicit-def: $vgpr6
	s_and_saveexec_b64 s[14:15], vcc
	s_cbranch_execz .LBB4_21
; %bb.16:
	v_sub_co_u32_e32 v6, vcc, v19, v0
	v_subb_co_u32_e32 v11, vcc, v20, v1, vcc
	v_ashrrev_i32_e32 v2, 31, v11
	v_lshrrev_b32_e32 v2, 22, v2
	v_add_co_u32_e32 v2, vcc, v6, v2
	v_addc_co_u32_e32 v3, vcc, 0, v11, vcc
	v_ashrrev_i64 v[7:8], 10, v[2:3]
	v_and_b32_e32 v2, 0xfffffc00, v2
	v_sub_co_u32_e32 v8, vcc, v6, v2
	v_subb_co_u32_e32 v9, vcc, v11, v3, vcc
	v_cmp_lt_i64_e32 vcc, 15, v[8:9]
	v_add_co_u32_e64 v2, s[4:5], v2, v0
	v_mov_b32_e32 v5, 0
	v_addc_co_u32_e64 v3, s[4:5], v3, v1, s[4:5]
	s_and_saveexec_b64 s[4:5], vcc
; %bb.17:
	v_add_co_u32_e32 v7, vcc, 1, v7
	v_and_b32_e32 v4, 15, v19
	v_sub_co_u32_e32 v8, vcc, v8, v4
	v_subbrev_co_u32_e32 v9, vcc, 0, v9, vcc
	v_add_co_u32_e32 v2, vcc, v8, v2
	v_addc_co_u32_e32 v3, vcc, v9, v3, vcc
	v_mov_b32_e32 v9, v5
	v_mov_b32_e32 v8, v4
; %bb.18:
	s_or_b64 exec, exec, s[4:5]
	v_lshlrev_b32_e32 v4, 6, v10
	v_sub_u32_e32 v4, v17, v4
	v_ashrrev_i32_e32 v5, 31, v4
	v_lshrrev_b32_e32 v5, 26, v5
	v_add_u32_e32 v5, v4, v5
	v_ashrrev_i32_e32 v10, 6, v5
	v_and_b32_e32 v5, 0xffffffc0, v5
	v_sub_u32_e32 v18, v4, v5
	v_lshlrev_b32_e32 v4, 4, v18
	v_lshl_add_u32 v4, v10, 10, v4
	v_ashrrev_i32_e32 v5, 31, v4
	v_sub_co_u32_e32 v19, vcc, v6, v4
	v_subb_co_u32_e32 v20, vcc, v11, v5, vcc
	v_cmp_gt_i64_e32 vcc, 16, v[19:20]
	s_mov_b64 s[4:5], 0
	s_mov_b64 s[18:19], -1
                                        ; implicit-def: $vgpr6
	s_and_saveexec_b64 s[20:21], vcc
; %bb.19:
	v_cmp_ne_u64_e32 vcc, 0, v[8:9]
	v_sub_u32_e32 v6, v10, v7
	v_lshl_add_u32 v6, v6, 6, v18
	s_xor_b64 s[18:19], exec, -1
	s_and_b64 s[4:5], vcc, exec
; %bb.20:
	s_or_b64 exec, exec, s[20:21]
	s_and_b64 s[20:21], s[18:19], exec
	s_and_b64 s[18:19], s[4:5], exec
.LBB4_21:
	s_or_b64 exec, exec, s[14:15]
	v_mov_b32_e32 v20, v9
	s_xor_b64 s[4:5], exec, -1
	s_and_b64 s[14:15], s[20:21], exec
	s_and_b64 s[18:19], s[18:19], exec
	v_mov_b32_e32 v19, v8
.LBB4_22:
	s_or_b64 exec, exec, s[16:17]
	s_and_saveexec_b64 s[16:17], s[18:19]
	s_cbranch_execz .LBB4_26
.LBB4_23:
	v_ashrrev_i32_e32 v7, 31, v6
	v_lshrrev_b32_e32 v7, 26, v7
	v_add_u32_e32 v7, v6, v7
	v_ashrrev_i32_e32 v8, 6, v7
	v_ashrrev_i32_e32 v7, 31, v20
	v_lshrrev_b32_e32 v7, 23, v7
	v_add_co_u32_e32 v9, vcc, v19, v7
	v_addc_co_u32_e32 v10, vcc, 0, v20, vcc
	v_ashrrev_i64 v[10:11], 9, v[9:10]
	v_ashrrev_i32_e32 v9, 31, v8
	v_cmp_gt_i64_e32 vcc, v[10:11], v[8:9]
	s_and_b64 exec, exec, vcc
	s_cbranch_execz .LBB4_26
; %bb.24:
	v_lshlrev_b32_e32 v7, 6, v8
	v_sub_u32_e32 v6, v6, v7
	v_lshl_add_u32 v6, v8, 9, v6
	v_ashrrev_i32_e32 v7, 31, v6
	v_add_co_u32_e32 v6, vcc, v2, v6
	v_addc_co_u32_e32 v7, vcc, v3, v7, vcc
	v_add_co_u32_e32 v2, vcc, v6, v14
	v_addc_co_u32_e32 v3, vcc, v7, v15, vcc
	;; [unrolled: 2-line block ×3, first 2 shown]
	s_and_b64 vcc, exec, -1
.LBB4_25:                               ; =>This Inner Loop Header: Depth=1
	flat_load_ubyte v8, v[6:7] glc slc
	flat_load_ubyte v9, v[6:7] offset:64 glc slc
	flat_load_ubyte v10, v[6:7] offset:128 glc slc
	;; [unrolled: 1-line block ×7, first 2 shown]
	s_waitcnt vmcnt(0) lgkmcnt(0)
	flat_store_byte v[2:3], v8 glc slc
	flat_store_byte v[2:3], v9 offset:64 glc slc
	flat_store_byte v[2:3], v10 offset:128 glc slc
	;; [unrolled: 1-line block ×7, first 2 shown]
	s_mov_b64 vcc, vcc
	s_cbranch_vccnz .LBB4_25
.LBB4_26:
	s_or_b64 exec, exec, s[16:17]
	s_and_saveexec_b64 s[16:17], s[14:15]
	s_cbranch_execz .LBB4_29
; %bb.27:
	v_add_co_u32_e32 v2, vcc, v0, v4
	v_addc_co_u32_e32 v3, vcc, v1, v5, vcc
	v_add_co_u32_e32 v0, vcc, v2, v14
	v_addc_co_u32_e32 v1, vcc, v3, v15, vcc
	;; [unrolled: 2-line block ×3, first 2 shown]
	s_and_b64 vcc, exec, 0
.LBB4_28:                               ; =>This Inner Loop Header: Depth=1
	global_load_dwordx4 v[4:7], v[2:3], off glc slc
	s_waitcnt vmcnt(0)
	global_store_dwordx4 v[0:1], v[4:7], off glc slc
	s_mov_b64 vcc, vcc
	s_cbranch_vccz .LBB4_28
.LBB4_29:
	s_or_b64 exec, exec, s[16:17]
	s_and_saveexec_b64 s[14:15], s[4:5]
	s_xor_b64 s[14:15], exec, s[14:15]
	s_cbranch_execz .LBB4_32
; %bb.30:
	v_bfe_i32 v0, v16, 0, 16
	v_lshlrev_b32_e32 v1, 4, v17
	v_lshl_add_u32 v2, v0, 11, v1
	v_ashrrev_i32_e32 v3, 31, v2
	v_add_co_u32_e32 v0, vcc, v14, v2
	v_addc_co_u32_e32 v1, vcc, v15, v3, vcc
	v_add_co_u32_e32 v2, vcc, v12, v2
	v_addc_co_u32_e32 v3, vcc, v13, v3, vcc
	s_and_b64 vcc, exec, 0
.LBB4_31:                               ; =>This Inner Loop Header: Depth=1
	global_load_dwordx4 v[4:7], v[2:3], off glc slc
	global_load_dwordx4 v[8:11], v[2:3], off offset:1024 glc slc
	s_waitcnt vmcnt(0)
	global_store_dwordx4 v[0:1], v[4:7], off glc slc
	global_store_dwordx4 v[0:1], v[8:11], off offset:1024 glc slc
	s_mov_b64 vcc, vcc
	s_cbranch_vccz .LBB4_31
.LBB4_32:
	s_or_b64 exec, exec, s[10:11]
                                        ; implicit-def: $vgpr0_vgpr1
                                        ; kill: killed $vgpr0_vgpr1
                                        ; implicit-def: $vgpr34_vgpr35
                                        ; implicit-def: $vgpr19_vgpr20
                                        ; implicit-def: $vgpr62
                                        ; implicit-def: $vgpr16
                                        ; implicit-def: $vgpr31
                                        ; implicit-def: $vgpr2_vgpr3
                                        ; implicit-def: $vgpr0_vgpr1
                                        ; kill: killed $vgpr0_vgpr1
                                        ; implicit-def: $vgpr35_vgpr36_vgpr37_vgpr38
                                        ; implicit-def: $vgpr0
                                        ; kill: killed $vgpr0
                                        ; implicit-def: $vgpr0
                                        ; kill: killed $vgpr0
.LBB4_33:
	s_andn2_saveexec_b64 s[44:45], s[6:7]
	s_cbranch_execz .LBB4_1053
; %bb.34:
	s_trap 2
	ds_read_b64 v[0:1], v0
	s_waitcnt lgkmcnt(0)
	v_cmp_ne_u32_e32 vcc, -1, v0
	v_cndmask_b32_e64 v7, 0, 1, vcc
	v_cmp_ne_u32_e32 vcc, -1, v1
	v_addc_co_u32_e64 v0, s[4:5], 0, v7, vcc
	v_lshlrev_b32_e32 v1, 1, v0
	v_cmp_le_u32_e64 s[4:5], v1, v16
	s_and_saveexec_b64 s[6:7], s[4:5]
	s_xor_b64 s[46:47], exec, s[6:7]
	s_cbranch_execz .LBB4_1050
; %bb.35:
	flat_load_dwordx2 v[4:5], v[2:3] offset:104
	flat_load_ushort v13, v[2:3] offset:8
	flat_load_dword v12, v[2:3] offset:4
	s_trap 2
	s_load_dword s4, s[8:9], 0x0
	v_mov_b32_e32 v1, 0
	v_mov_b32_e32 v57, 4
	s_waitcnt lgkmcnt(0)
	s_cmp_lt_u32 s12, s4
	s_cselect_b32 s4, 12, 18
	s_add_u32 s4, s8, s4
	s_addc_u32 s5, s9, 0
	global_load_ushort v17, v1, s[4:5]
	ds_read_b32 v1, v0
	v_cmp_ge_i32_e64 s[4:5], v62, v7
	s_waitcnt lgkmcnt(0)
	v_readfirstlane_b32 s12, v1
	s_and_saveexec_b64 s[6:7], s[4:5]
	s_cbranch_execz .LBB4_45
; %bb.36:
	v_cmp_ge_u32_e64 s[4:5], v62, v0
                                        ; implicit-def: $vgpr57
	s_and_saveexec_b64 s[10:11], s[4:5]
	s_xor_b64 s[4:5], exec, s[10:11]
	s_cbranch_execz .LBB4_42
; %bb.37:
	v_cndmask_b32_e64 v1, 0, 1, vcc
	v_sub_u32_e32 v1, v16, v1
	v_cmp_ge_u32_e32 vcc, v62, v1
	s_and_saveexec_b64 s[10:11], vcc
	s_xor_b64 s[10:11], exec, s[10:11]
; %bb.38:
                                        ; implicit-def: $vgpr0
; %bb.39:
	s_or_saveexec_b64 s[10:11], s[10:11]
	v_mov_b32_e32 v57, 16
	s_xor_b64 exec, exec, s[10:11]
; %bb.40:
	v_sub_u32_e32 v0, v16, v0
	v_cmp_lt_i32_e32 vcc, v62, v0
	v_cndmask_b32_e64 v57, 32, 0, vcc
; %bb.41:
	s_or_b64 exec, exec, s[10:11]
.LBB4_42:
	s_andn2_saveexec_b64 s[4:5], s[4:5]
; %bb.43:
	v_mov_b32_e32 v57, 8
; %bb.44:
	s_or_b64 exec, exec, s[4:5]
.LBB4_45:
	s_or_b64 exec, exec, s[6:7]
	v_and_b32_e32 v0, 36, v57
	v_cmp_ne_u32_e32 vcc, 0, v0
	v_mov_b32_e32 v14, -1
	s_and_saveexec_b64 s[4:5], vcc
	s_cbranch_execz .LBB4_47
; %bb.46:
	s_trap 2
	ds_read_b32 v14, v0
.LBB4_47:
	s_or_b64 exec, exec, s[4:5]
	v_and_b32_e32 v0, 24, v57
	v_cmp_ne_u32_e64 s[4:5], 0, v0
	s_and_saveexec_b64 s[6:7], s[4:5]
	s_cbranch_execz .LBB4_49
; %bb.48:
	s_trap 2
	s_waitcnt lgkmcnt(0)
	ds_read_b32 v14, v0
.LBB4_49:
	s_or_b64 exec, exec, s[6:7]
	s_waitcnt vmcnt(0)
	v_lshrrev_b64 v[0:1], 31, v[12:13]
	v_mov_b32_e32 v21, 0
	v_mov_b32_e32 v12, 0
	;; [unrolled: 1-line block ×3, first 2 shown]
	v_and_b32_e32 v1, 3, v0
	v_mov_b32_e32 v13, 0
	s_waitcnt lgkmcnt(0)
	v_ashrrev_i32_e32 v15, 31, v14
                                        ; implicit-def: $vgpr8_vgpr9
                                        ; kill: killed $vgpr8_vgpr9
                                        ; implicit-def: $vgpr60
                                        ; implicit-def: $vgpr50_vgpr51
                                        ; implicit-def: $vgpr26_vgpr27
                                        ; implicit-def: $vgpr32_vgpr33
                                        ; implicit-def: $vgpr24_vgpr25
	s_and_saveexec_b64 s[4:5], vcc
	s_cbranch_execz .LBB4_59
; %bb.50:
	s_trap 2
	ds_read_b64 v[8:9], v0
	v_lshlrev_b64 v[10:11], 3, v[14:15]
	v_and_b32_e32 v0, 0xffff, v1
	s_movk_i32 s6, 0xa8
	s_waitcnt lgkmcnt(0)
	v_add_co_u32_e32 v8, vcc, v8, v10
	v_addc_co_u32_e32 v9, vcc, v9, v11, vcc
	flat_load_dwordx2 v[8:9], v[8:9]
	s_waitcnt vmcnt(0) lgkmcnt(0)
	v_mad_u64_u32 v[28:29], s[6:7], v0, s6, v[8:9]
                                        ; implicit-def: $vgpr8_vgpr9
                                        ; kill: killed $vgpr8_vgpr9
	flat_load_dword v0, v[28:29] offset:640
	s_waitcnt vmcnt(0) lgkmcnt(0)
	v_cmp_eq_u32_e32 vcc, 1, v0
	s_and_saveexec_b64 s[6:7], vcc
	s_cbranch_execz .LBB4_52
; %bb.51:
	flat_load_dwordx2 v[10:11], v[28:29] offset:648
	v_or_b32_e32 v57, 0x2000, v57
	s_waitcnt vmcnt(0) lgkmcnt(0)
	flat_load_dwordx2 v[8:9], v[10:11]
	s_trap 2
	s_waitcnt vmcnt(0) lgkmcnt(0)
	ds_write_b64 v0, v[8:9]
	flat_load_dwordx2 v[8:9], v[10:11] offset:8
	s_waitcnt vmcnt(0) lgkmcnt(0)
	ds_write_b64 v0, v[8:9]
	buffer_store_dword v10, off, s[0:3], s33 offset:208 ; 4-byte Folded Spill
	s_nop 0
	buffer_store_dword v11, off, s[0:3], s33 offset:212 ; 4-byte Folded Spill
	flat_load_dwordx2 v[8:9], v[10:11] offset:16
	s_waitcnt vmcnt(0) lgkmcnt(0)
	ds_write_b64 v0, v[8:9]
.LBB4_52:
	s_or_b64 exec, exec, s[6:7]
	flat_load_dwordx2 v[8:9], v[28:29] offset:608
	v_and_b32_e32 v0, 32, v57
                                        ; implicit-def: $vgpr24_vgpr25
	s_waitcnt vmcnt(0) lgkmcnt(0)
	v_add_co_u32_e32 v6, vcc, 3, v8
	v_addc_co_u32_e32 v51, vcc, 0, v9, vcc
	v_and_b32_e32 v50, -4, v6
	v_cmp_ne_u32_e32 vcc, 0, v0
	s_and_saveexec_b64 s[6:7], vcc
	s_cbranch_execz .LBB4_54
; %bb.53:
	flat_load_dwordx2 v[24:25], v[28:29] offset:560
	s_waitcnt vmcnt(0) lgkmcnt(0)
	flat_store_dwordx2 v[24:25], v[50:51]
.LBB4_54:
	s_or_b64 exec, exec, s[6:7]
	v_add_co_u32_e32 v21, vcc, 0x1f8, v28
	v_addc_co_u32_e32 v22, vcc, 0, v29, vcc
	v_and_b32_e32 v0, 4, v57
	v_mov_b32_e32 v12, 0
	v_mov_b32_e32 v13, 0
	v_cmp_ne_u32_e32 vcc, 0, v0
                                        ; implicit-def: $vgpr60
                                        ; implicit-def: $vgpr26_vgpr27
                                        ; implicit-def: $vgpr32_vgpr33
	s_and_saveexec_b64 s[6:7], vcc
	s_cbranch_execz .LBB4_58
; %bb.55:
	v_and_b32_e32 v0, 0x800, v57
	v_cmp_eq_u32_e32 vcc, 0, v0
	s_and_saveexec_b64 s[10:11], vcc
	s_cbranch_execz .LBB4_57
; %bb.56:
	s_trap 2
	ds_write_b64 v0, v[21:22]
.LBB4_57:
	s_or_b64 exec, exec, s[10:11]
	flat_load_dwordx2 v[24:25], v[28:29] offset:552
	v_or_b32_e32 v0, 0x100, v57
	s_waitcnt vmcnt(0) lgkmcnt(0)
	flat_load_dwordx2 v[32:33], v[24:25] glc
	flat_load_dwordx2 v[12:13], v[28:29] offset:600
	flat_load_dword v60, v[28:29] offset:576
	flat_load_dwordx2 v[26:27], v[28:29] offset:520
	s_waitcnt vmcnt(0) lgkmcnt(0)
	v_cmp_eq_u64_e32 vcc, 0, v[12:13]
	v_cndmask_b32_e32 v57, v0, v57, vcc
.LBB4_58:
	s_or_b64 exec, exec, s[6:7]
.LBB4_59:
	s_or_b64 exec, exec, s[4:5]
	v_and_b32_e32 v0, 24, v57
	v_cmp_ne_u32_e32 vcc, 0, v0
                                        ; implicit-def: $vgpr28_vgpr29
	s_and_saveexec_b64 s[4:5], vcc
	s_cbranch_execz .LBB4_67
; %bb.60:
	s_trap 2
	ds_read_b64 v[8:9], v0
	v_lshlrev_b64 v[10:11], 3, v[14:15]
	v_and_b32_e32 v0, 0xffff, v1
	s_movk_i32 s6, 0xa8
                                        ; implicit-def: $vgpr28_vgpr29
	s_waitcnt lgkmcnt(0)
	v_add_co_u32_e32 v8, vcc, v8, v10
	v_addc_co_u32_e32 v9, vcc, v9, v11, vcc
	flat_load_dwordx2 v[8:9], v[8:9]
	s_waitcnt vmcnt(0) lgkmcnt(0)
	v_mad_u64_u32 v[21:22], s[6:7], v0, s6, v[8:9]
	v_or_b32_e32 v0, 0x100, v57
	flat_load_dwordx4 v[12:15], v[21:22] offset:96
	s_waitcnt vmcnt(0) lgkmcnt(0)
	v_cmp_eq_u64_e32 vcc, 0, v[12:13]
	v_cndmask_b32_e32 v57, v0, v57, vcc
	v_and_b32_e32 v0, 16, v57
	v_cmp_ne_u32_e32 vcc, 0, v0
	s_and_saveexec_b64 s[6:7], vcc
	s_cbranch_execz .LBB4_62
; %bb.61:
	flat_load_dwordx2 v[24:25], v[21:22] offset:48
	flat_load_dwordx2 v[28:29], v[21:22] offset:120
	;; [unrolled: 1-line block ×3, first 2 shown]
.LBB4_62:
	s_or_b64 exec, exec, s[6:7]
	v_add_co_u32_e32 v0, vcc, 3, v14
	v_addc_co_u32_e32 v51, vcc, 0, v15, vcc
	v_and_b32_e32 v50, -4, v0
	v_and_b32_e32 v0, 8, v57
	v_cmp_ne_u32_e32 vcc, 0, v0
	s_and_saveexec_b64 s[6:7], vcc
	s_cbranch_execz .LBB4_66
; %bb.63:
	v_and_b32_e32 v0, 0x800, v57
	v_cmp_eq_u32_e32 vcc, 0, v0
	s_and_saveexec_b64 s[10:11], vcc
	s_cbranch_execz .LBB4_65
; %bb.64:
	s_trap 2
	ds_write_b64 v0, v[21:22]
.LBB4_65:
	s_or_b64 exec, exec, s[10:11]
	s_waitcnt vmcnt(0) lgkmcnt(0)
	flat_load_dwordx2 v[24:25], v[21:22] offset:56
	s_waitcnt vmcnt(0) lgkmcnt(0)
	flat_load_dwordx2 v[32:33], v[24:25] glc
	flat_load_dword v60, v[21:22] offset:72
	flat_load_dwordx2 v[26:27], v[21:22] offset:16
.LBB4_66:
	s_or_b64 exec, exec, s[6:7]
.LBB4_67:
	s_or_b64 exec, exec, s[4:5]
	v_cmp_eq_u32_e64 s[4:5], 0, v62
	s_and_saveexec_b64 s[6:7], s[4:5]
	s_cbranch_execz .LBB4_69
; %bb.68:
	flat_load_dwordx2 v[0:1], v[2:3] offset:32
	v_mov_b32_e32 v8, v37
	v_mov_b32_e32 v9, v38
	;; [unrolled: 1-line block ×4, first 2 shown]
	s_waitcnt vmcnt(0) lgkmcnt(0)
	ds_write2_b64 v0, v[8:9], v[10:11] offset1:1
	s_trap 2
	ds_write_b64 v0, v[0:1]
	ds_write_b64 v0, v[4:5]
.LBB4_69:
	s_or_b64 exec, exec, s[6:7]
	v_mov_b32_e32 v14, 0
	v_cmp_ne_u64_e32 vcc, 0, v[19:20]
	v_mov_b32_e32 v15, 0
	s_and_saveexec_b64 s[56:57], vcc
	s_cbranch_execz .LBB4_1016
; %bb.70:
	buffer_store_dword v21, off, s[0:3], s33 offset:200 ; 4-byte Folded Spill
	s_nop 0
	buffer_store_dword v22, off, s[0:3], s33 offset:204 ; 4-byte Folded Spill
	buffer_store_dword v35, off, s[0:3], s33 offset:160 ; 4-byte Folded Spill
	s_nop 0
	buffer_store_dword v36, off, s[0:3], s33 offset:164 ; 4-byte Folded Spill
	buffer_store_dword v37, off, s[0:3], s33 offset:168 ; 4-byte Folded Spill
	;; [unrolled: 1-line block ×3, first 2 shown]
	flat_load_dword v4, v[2:3] offset:4
	v_lshlrev_b32_e32 v0, 9, v34
	v_and_b32_e32 v5, 0x3ffffe00, v0
	v_cvt_f64_u32_e32 v[0:1], 0
	v_cvt_f64_u32_e32 v[2:3], v5
	buffer_store_dword v5, off, s[0:3], s33 offset:176 ; 4-byte Folded Spill
	s_ashr_i32 s6, s12, 31
	v_ldexp_f64 v[0:1], v[0:1], 32
	s_lshr_b32 s6, s6, 25
	s_add_i32 s12, s12, s6
	s_movk_i32 s18, 0x400
	s_ashr_i32 s53, s12, 7
	v_cmp_eq_u32_e64 s[10:11], 64, v16
	v_cmp_ne_u32_e64 s[12:13], 64, v16
	v_cmp_ne_u32_sdwa s[58:59], v16, v17 src0_sel:DWORD src1_sel:WORD_0
	v_add_f64 v[0:1], v[0:1], v[2:3]
	v_mov_b32_e32 v2, v19
	v_mov_b32_e32 v3, v20
	v_lshrrev_b32_e32 v20, 6, v16
	v_lshlrev_b32_e32 v37, 10, v20
	buffer_store_dword v0, off, s[0:3], s33 offset:180 ; 4-byte Folded Spill
	s_nop 0
	buffer_store_dword v1, off, s[0:3], s33 offset:184 ; 4-byte Folded Spill
	v_and_b32_e32 v0, 63, v31
	v_cmp_eq_u32_e64 s[6:7], 0, v0
	v_ashrrev_i32_e32 v0, 31, v62
	v_lshrrev_b32_e32 v0, 26, v0
	v_add_u32_e32 v0, v62, v0
	v_ashrrev_i32_e32 v58, 6, v0
	v_and_b32_e32 v0, 0xffffffc0, v0
	v_sub_u32_e32 v5, v62, v0
	v_sub_u32_e32 v0, 0, v58
	buffer_store_dword v31, off, s[0:3], s33 offset:192 ; 4-byte Folded Spill
	s_trap 2
	buffer_store_dword v0, off, s[0:3], s33 offset:68 ; 4-byte Folded Spill
	v_lshlrev_b32_e32 v0, 4, v62
	buffer_store_dword v0, off, s[0:3], s33 offset:64 ; 4-byte Folded Spill
	v_ashrrev_i32_e32 v0, 31, v0
	buffer_store_dword v0, off, s[0:3], s33 offset:84 ; 4-byte Folded Spill
	v_lshlrev_b32_e32 v0, 11, v58
	v_add_u32_e32 v61, 0xfffffc00, v37
	v_lshl_add_u32 v8, v5, 4, v0
	v_ashrrev_i32_e32 v31, 31, v61
	v_add_co_u32_e32 v1, vcc, s18, v61
	buffer_store_dword v16, off, s[0:3], s33 offset:188 ; 4-byte Folded Spill
	v_and_b32_e32 v16, 0x3fc0, v16
	v_ashrrev_i32_e32 v9, 31, v8
	buffer_store_dword v17, off, s[0:3], s33 offset:196 ; 4-byte Folded Spill
	v_addc_co_u32_e32 v18, vcc, 0, v31, vcc
	v_subrev_u32_e32 v21, 64, v16
	buffer_store_dword v8, off, s[0:3], s33 offset:88 ; 4-byte Folded Spill
	s_nop 0
	buffer_store_dword v9, off, s[0:3], s33 offset:92 ; 4-byte Folded Spill
	v_cmp_le_i32_e64 s[16:17], v5, v7
	v_ashrrev_i32_e32 v59, 31, v21
	v_add_co_u32_e32 v11, vcc, 64, v21
	s_waitcnt vmcnt(0) lgkmcnt(0)
	v_cmp_eq_u64_e64 s[20:21], 0, v[28:29]
	v_cmp_ne_u64_e64 s[22:23], 0, v[28:29]
	v_cmp_lt_i32_e64 s[24:25], v5, v7
	s_cmp_gt_i32 s52, 2
	v_mov_b32_e32 v7, 0
	v_mov_b32_e32 v14, 0
	;; [unrolled: 1-line block ×3, first 2 shown]
	v_ashrrev_i32_e32 v39, 31, v60
	s_movk_i32 s54, 0xffc0
	v_cmp_gt_i32_e64 s[14:15], 1, v5
	v_lshlrev_b32_e32 v19, 9, v20
	v_addc_co_u32_e32 v6, vcc, 0, v59, vcc
	v_lshlrev_b32_e32 v53, 11, v20
	s_mov_b64 s[60:61], 0
	s_cselect_b64 s[62:63], -1, 0
	s_add_i32 s55, s52, -2
	v_mov_b32_e32 v8, 0
	v_mov_b32_e32 v15, 0
	s_movk_i32 s64, 0x108
	v_mov_b32_e32 v52, 0xd0
	v_mov_b32_e32 v38, 0x88
	v_and_b32_e32 v0, 1, v4
	v_cmp_eq_u32_e64 s[18:19], 1, v0
	s_xor_b64 s[72:73], s[18:19], -1
	buffer_store_dword v5, off, s[0:3], s33 offset:72 ; 4-byte Folded Spill
	buffer_store_dword v62, off, s[0:3], s33 offset:116 ; 4-byte Folded Spill
	;; [unrolled: 1-line block ×4, first 2 shown]
	s_nop 0
	buffer_store_dword v1, off, s[0:3], s33 offset:148 ; 4-byte Folded Spill
	buffer_store_dword v2, off, s[0:3], s33 offset:152 ; 4-byte Folded Spill
	;; [unrolled: 1-line block ×3, first 2 shown]
	s_branch .LBB4_73
.LBB4_71:                               ;   in Loop: Header=BB4_73 Depth=1
	s_or_b64 exec, exec, s[40:41]
.LBB4_72:                               ;   in Loop: Header=BB4_73 Depth=1
	s_or_b64 exec, exec, s[28:29]
	buffer_load_dword v0, off, s[0:3], s33 offset:176 ; 4-byte Folded Reload
	buffer_load_dword v7, off, s[0:3], s33 offset:128 ; 4-byte Folded Reload
	;; [unrolled: 1-line block ×7, first 2 shown]
	s_waitcnt vmcnt(0)
	v_add_co_u32_e32 v7, vcc, v7, v0
	v_mov_b32_e32 v2, v4
	v_addc_co_u32_e32 v8, vcc, 0, v8, vcc
	v_mov_b32_e32 v3, v5
	v_cmp_ge_u64_e32 vcc, v[7:8], v[2:3]
	s_or_b64 s[60:61], vcc, s[60:61]
	s_andn2_b64 exec, exec, s[60:61]
	s_cbranch_execz .LBB4_1015
.LBB4_73:                               ; =>This Loop Header: Depth=1
                                        ;     Child Loop BB4_78 Depth 2
                                        ;       Child Loop BB4_86 Depth 3
                                        ;       Child Loop BB4_110 Depth 3
	;; [unrolled: 1-line block ×4, first 2 shown]
                                        ;         Child Loop BB4_158 Depth 4
                                        ;       Child Loop BB4_164 Depth 3
                                        ;         Child Loop BB4_165 Depth 4
                                        ;       Child Loop BB4_174 Depth 3
                                        ;       Child Loop BB4_179 Depth 3
                                        ;         Child Loop BB4_180 Depth 4
                                        ;       Child Loop BB4_192 Depth 3
                                        ;       Child Loop BB4_197 Depth 3
                                        ;       Child Loop BB4_205 Depth 3
                                        ;       Child Loop BB4_210 Depth 3
                                        ;       Child Loop BB4_220 Depth 3
                                        ;       Child Loop BB4_239 Depth 3
                                        ;     Child Loop BB4_399 Depth 2
                                        ;       Child Loop BB4_405 Depth 3
                                        ;       Child Loop BB4_429 Depth 3
	;; [unrolled: 1-line block ×3, first 2 shown]
                                        ;     Child Loop BB4_257 Depth 2
                                        ;       Child Loop BB4_265 Depth 3
                                        ;       Child Loop BB4_289 Depth 3
	;; [unrolled: 1-line block ×9, first 2 shown]
                                        ;     Child Loop BB4_471 Depth 2
                                        ;       Child Loop BB4_477 Depth 3
                                        ;       Child Loop BB4_501 Depth 3
                                        ;       Child Loop BB4_525 Depth 3
                                        ;     Child Loop BB4_544 Depth 2
                                        ;       Child Loop BB4_547 Depth 3
                                        ;         Child Loop BB4_555 Depth 4
                                        ;         Child Loop BB4_583 Depth 4
	;; [unrolled: 1-line block ×4, first 2 shown]
                                        ;           Child Loop BB4_626 Depth 5
                                        ;         Child Loop BB4_632 Depth 4
                                        ;           Child Loop BB4_633 Depth 5
                                        ;         Child Loop BB4_642 Depth 4
                                        ;         Child Loop BB4_647 Depth 4
                                        ;           Child Loop BB4_648 Depth 5
                                        ;         Child Loop BB4_660 Depth 4
                                        ;         Child Loop BB4_665 Depth 4
	;; [unrolled: 1-line block ×6, first 2 shown]
                                        ;       Child Loop BB4_729 Depth 3
                                        ;         Child Loop BB4_735 Depth 4
                                        ;         Child Loop BB4_763 Depth 4
	;; [unrolled: 1-line block ×3, first 2 shown]
                                        ;     Child Loop BB4_808 Depth 2
                                        ;       Child Loop BB4_816 Depth 3
                                        ;       Child Loop BB4_840 Depth 3
	;; [unrolled: 1-line block ×9, first 2 shown]
                                        ;     Child Loop BB4_949 Depth 2
                                        ;       Child Loop BB4_955 Depth 3
                                        ;       Child Loop BB4_979 Depth 3
	;; [unrolled: 1-line block ×3, first 2 shown]
	v_sub_co_u32_e32 v0, vcc, v2, v7
	v_subb_co_u32_e32 v2, vcc, v3, v8, vcc
	v_cvt_f64_u32_e32 v[2:3], v2
	v_cvt_f64_u32_e32 v[4:5], v0
	v_ldexp_f64 v[2:3], v[2:3], 32
	v_add_f64 v[2:3], v[2:3], v[4:5]
	buffer_load_dword v4, off, s[0:3], s33 offset:180 ; 4-byte Folded Reload
	buffer_load_dword v5, off, s[0:3], s33 offset:184 ; 4-byte Folded Reload
	s_waitcnt vmcnt(0)
	v_max_f64 v[4:5], v[4:5], v[4:5]
	v_min_f64 v[2:3], v[4:5], v[2:3]
	v_cvt_i32_f64_e32 v2, v[2:3]
	buffer_load_dword v3, off, s[0:3], s33 offset:136 ; 4-byte Folded Reload
	buffer_load_dword v4, off, s[0:3], s33 offset:140 ; 4-byte Folded Reload
	s_waitcnt vmcnt(0)
	v_add_co_u32_e32 v22, vcc, v7, v3
	buffer_store_dword v7, off, s[0:3], s33 offset:128 ; 4-byte Folded Spill
	s_nop 0
	buffer_store_dword v8, off, s[0:3], s33 offset:132 ; 4-byte Folded Spill
	s_waitcnt vmcnt(2)
	v_addc_co_u32_e32 v23, vcc, v8, v4, vcc
	buffer_load_dword v3, off, s[0:3], s33 offset:100 ; 4-byte Folded Reload
	buffer_load_dword v4, off, s[0:3], s33 offset:104 ; 4-byte Folded Reload
	;; [unrolled: 1-line block ×3, first 2 shown]
	s_waitcnt vmcnt(0)
	flat_load_dword v0, v[3:4]
	s_nop 0
	buffer_load_dword v4, off, s[0:3], s33 offset:112 ; 4-byte Folded Reload
	buffer_load_dword v7, off, s[0:3], s33 offset:160 ; 4-byte Folded Reload
	buffer_load_dword v8, off, s[0:3], s33 offset:164 ; 4-byte Folded Reload
	buffer_load_dword v9, off, s[0:3], s33 offset:168 ; 4-byte Folded Reload
	buffer_load_dword v10, off, s[0:3], s33 offset:172 ; 4-byte Folded Reload
	s_waitcnt vmcnt(0) lgkmcnt(0)
	v_ashrrev_i32_e32 v3, 31, v0
	v_mul_lo_u32 v4, v4, v0
	v_mul_lo_u32 v3, v5, v3
	v_mad_u64_u32 v[48:49], s[26:27], v5, v0, v[22:23]
	v_cmp_lt_i32_e64 s[26:27], 0, v2
	v_add3_u32 v49, v4, v49, v3
	v_add_co_u32_e32 v3, vcc, v9, v22
	buffer_store_dword v22, off, s[0:3], s33 offset:76 ; 4-byte Folded Spill
	s_nop 0
	buffer_store_dword v23, off, s[0:3], s33 offset:80 ; 4-byte Folded Spill
	v_max_i32_e32 v22, 0, v2
	v_add_u32_e32 v0, 31, v22
	v_addc_co_u32_e32 v4, vcc, v10, v23, vcc
	v_add_co_u32_e32 v7, vcc, v7, v48
	buffer_store_dword v48, off, s[0:3], s33 offset:120 ; 4-byte Folded Spill
	s_nop 0
	buffer_store_dword v49, off, s[0:3], s33 offset:124 ; 4-byte Folded Spill
	v_mov_b32_e32 v10, 1
	v_addc_co_u32_e32 v8, vcc, v8, v49, vcc
	v_cmp_ne_u64_e32 vcc, v[3:4], v[7:8]
	v_ashrrev_i32_e32 v3, 31, v0
	v_lshrrev_b32_e32 v3, 27, v3
	v_add_u32_e32 v0, v0, v3
	v_ashrrev_i32_e32 v0, 5, v0
	v_lshlrev_b32_e32 v0, 4, v0
	v_max_i32_e32 v41, s53, v0
	s_mov_b64 s[28:29], exec
	s_and_b64 s[40:41], s[28:29], vcc
	s_xor_b64 s[74:75], s[40:41], s[28:29]
	buffer_store_dword v41, off, s[0:3], s33 offset:96 ; 4-byte Folded Spill
	s_mov_b64 exec, s[40:41]
	s_cbranch_execz .LBB4_252
; %bb.74:                               ;   in Loop: Header=BB4_73 Depth=1
	v_mov_b32_e32 v0, 0
	v_mov_b32_e32 v54, v41
	;; [unrolled: 1-line block ×3, first 2 shown]
	s_and_saveexec_b64 s[76:77], s[26:27]
	s_cbranch_execz .LBB4_395
; %bb.75:                               ;   in Loop: Header=BB4_73 Depth=1
	s_mov_b32 s65, 1
	s_mov_b64 s[88:89], -1
	v_mov_b32_e32 v17, 0
	s_mov_b64 s[78:79], 0
	v_mov_b32_e32 v54, v41
	s_branch .LBB4_78
.LBB4_76:                               ;   in Loop: Header=BB4_78 Depth=2
	s_or_b64 exec, exec, s[40:41]
	v_add_co_u32_e32 v50, vcc, 2, v50
	v_addc_co_u32_e32 v51, vcc, 0, v51, vcc
	flat_store_dwordx2 v[24:25], v[50:51]
.LBB4_77:                               ;   in Loop: Header=BB4_78 Depth=2
	s_or_b64 exec, exec, s[28:29]
	v_add_u32_e32 v17, v54, v17
	v_cmp_ge_i32_e32 vcc, v17, v22
	s_xor_b64 s[28:29], s[88:89], -1
	s_or_b64 s[28:29], s[28:29], vcc
	s_and_b64 s[28:29], exec, s[28:29]
	s_or_b64 s[78:79], s[28:29], s[78:79]
	s_mov_b64 s[88:89], 0
	v_mov_b32_e32 v0, s65
	s_mov_b32 s65, 2
	s_andn2_b64 exec, exec, s[78:79]
	s_cbranch_execz .LBB4_394
.LBB4_78:                               ;   Parent Loop BB4_73 Depth=1
                                        ; =>  This Loop Header: Depth=2
                                        ;       Child Loop BB4_86 Depth 3
                                        ;       Child Loop BB4_110 Depth 3
                                        ;       Child Loop BB4_129 Depth 3
                                        ;       Child Loop BB4_157 Depth 3
                                        ;         Child Loop BB4_158 Depth 4
                                        ;       Child Loop BB4_164 Depth 3
                                        ;         Child Loop BB4_165 Depth 4
                                        ;       Child Loop BB4_174 Depth 3
                                        ;       Child Loop BB4_179 Depth 3
                                        ;         Child Loop BB4_180 Depth 4
                                        ;       Child Loop BB4_192 Depth 3
                                        ;       Child Loop BB4_197 Depth 3
	;; [unrolled: 1-line block ×6, first 2 shown]
	s_and_saveexec_b64 s[28:29], s[4:5]
	s_cbranch_execz .LBB4_80
; %bb.79:                               ;   in Loop: Header=BB4_78 Depth=2
	s_trap 2
	ds_read2_b64 v[2:5], v0 offset1:1
	buffer_load_dword v7, off, s[0:3], s33 offset:76 ; 4-byte Folded Reload
	buffer_load_dword v8, off, s[0:3], s33 offset:80 ; 4-byte Folded Reload
	s_waitcnt vmcnt(0) lgkmcnt(0)
	v_add_co_u32_e32 v0, vcc, v2, v7
	s_waitcnt vmcnt(0)
	v_addc_co_u32_e32 v3, vcc, v3, v8, vcc
	v_ashrrev_i32_e32 v7, 31, v17
	v_add_co_u32_e32 v2, vcc, v0, v17
	v_addc_co_u32_e32 v3, vcc, v3, v7, vcc
	ds_write_b64 v0, v[2:3]
	buffer_load_dword v8, off, s[0:3], s33 offset:120 ; 4-byte Folded Reload
	buffer_load_dword v9, off, s[0:3], s33 offset:124 ; 4-byte Folded Reload
	s_waitcnt vmcnt(1)
	v_add_co_u32_e32 v0, vcc, v4, v8
	s_waitcnt vmcnt(0)
	v_addc_co_u32_e32 v3, vcc, v5, v9, vcc
	v_add_co_u32_e32 v2, vcc, v0, v17
	v_addc_co_u32_e32 v3, vcc, v3, v7, vcc
	ds_write_b64 v0, v[2:3]
	ds_read_b64 v[2:3], v0
	s_waitcnt lgkmcnt(0)
	v_add_co_u32_e32 v0, vcc, v2, v8
	v_addc_co_u32_e32 v4, vcc, v3, v9, vcc
	v_add_co_u32_e32 v0, vcc, v0, v17
	v_addc_co_u32_e32 v4, vcc, v4, v7, vcc
	v_cmp_ne_u64_e32 vcc, 0, v[2:3]
	v_cndmask_b32_e32 v3, 0, v4, vcc
	v_cndmask_b32_e32 v2, 0, v0, vcc
	ds_write_b64 v0, v[2:3]
.LBB4_80:                               ;   in Loop: Header=BB4_78 Depth=2
	s_or_b64 exec, exec, s[28:29]
	v_sub_u32_e32 v0, v22, v17
	v_min_i32_e32 v54, v54, v0
	v_and_b32_e32 v0, 8, v57
	v_cmp_ne_u32_e32 vcc, 0, v0
	s_and_saveexec_b64 s[40:41], vcc
	s_cbranch_execz .LBB4_102
; %bb.81:                               ;   in Loop: Header=BB4_78 Depth=2
	s_waitcnt vmcnt(0)
	v_add_co_u32_e32 v4, vcc, 8, v32
	v_addc_co_u32_e32 v5, vcc, 0, v33, vcc
	v_add_co_u32_e32 v2, vcc, 2, v50
	v_addc_co_u32_e32 v3, vcc, 0, v51, vcc
	v_cmp_lt_u64_e32 vcc, v[4:5], v[2:3]
	s_and_saveexec_b64 s[42:43], vcc
	s_cbranch_execz .LBB4_93
; %bb.82:                               ;   in Loop: Header=BB4_78 Depth=2
	v_and_b32_e32 v0, 64, v57
	s_mov_b32 s66, 0
	v_cmp_eq_u32_e32 vcc, 0, v0
	s_mov_b64 s[90:91], 0
                                        ; implicit-def: $sgpr92_sgpr93
                                        ; implicit-def: $sgpr94_sgpr95
                                        ; implicit-def: $sgpr30_sgpr31
	s_branch .LBB4_86
.LBB4_83:                               ;   in Loop: Header=BB4_86 Depth=3
	s_waitcnt vmcnt(0) lgkmcnt(0)
	v_add_co_u32_e64 v4, s[28:29], 8, v32
	v_addc_co_u32_e64 v5, s[28:29], 0, v33, s[28:29]
	v_cmp_ge_u64_e64 s[28:29], v[4:5], v[2:3]
	s_or_b64 s[38:39], s[38:39], exec
	s_orn2_b64 s[36:37], s[28:29], exec
.LBB4_84:                               ;   in Loop: Header=BB4_86 Depth=3
	s_or_b64 exec, exec, s[50:51]
	s_andn2_b64 s[28:29], s[30:31], exec
	s_and_b64 s[30:31], s[38:39], exec
	s_or_b64 s[30:31], s[28:29], s[30:31]
	s_andn2_b64 s[28:29], s[94:95], exec
	s_and_b64 s[94:95], s[36:37], exec
	s_or_b64 s[94:95], s[28:29], s[94:95]
.LBB4_85:                               ;   in Loop: Header=BB4_86 Depth=3
	s_or_b64 exec, exec, s[34:35]
	s_and_b64 s[28:29], exec, s[94:95]
	s_or_b64 s[90:91], s[28:29], s[90:91]
	s_andn2_b64 s[28:29], s[92:93], exec
	s_and_b64 s[92:93], s[30:31], exec
	s_or_b64 s[92:93], s[28:29], s[92:93]
	s_andn2_b64 exec, exec, s[90:91]
	s_cbranch_execz .LBB4_90
.LBB4_86:                               ;   Parent Loop BB4_73 Depth=1
                                        ;     Parent Loop BB4_78 Depth=2
                                        ; =>    This Inner Loop Header: Depth=3
	s_sleep 1
	s_waitcnt vmcnt(0) lgkmcnt(0)
	flat_load_dwordx2 v[32:33], v[24:25] glc
	s_or_b64 s[30:31], s[30:31], exec
	s_or_b64 s[94:95], s[94:95], exec
                                        ; implicit-def: $vgpr0
	s_and_saveexec_b64 s[34:35], vcc
	s_cbranch_execz .LBB4_85
; %bb.87:                               ;   in Loop: Header=BB4_86 Depth=3
	s_cmpk_lt_i32 s66, 0x270f
	s_cselect_b64 s[48:49], -1, 0
	s_cmpk_gt_i32 s66, 0x270e
	s_mov_b64 s[36:37], -1
	s_cbranch_scc0 .LBB4_89
; %bb.88:                               ;   in Loop: Header=BB4_86 Depth=3
	s_trap 2
	ds_read_b64 v[4:5], v0
	s_andn2_b64 s[48:49], s[48:49], exec
	s_mov_b32 s66, 0
	s_mov_b64 s[38:39], 0
	s_waitcnt vmcnt(0) lgkmcnt(0)
	flat_load_dword v0, v[4:5] glc
	s_waitcnt vmcnt(0) lgkmcnt(0)
	buffer_wbinvl1_vol
	v_cmp_eq_u32_e64 s[28:29], 0, v0
	s_and_b64 s[28:29], s[28:29], exec
	s_or_b64 s[48:49], s[48:49], s[28:29]
	s_and_saveexec_b64 s[50:51], s[48:49]
	s_cbranch_execz .LBB4_84
	s_branch .LBB4_83
.LBB4_89:                               ;   in Loop: Header=BB4_86 Depth=3
	s_add_i32 s66, s66, 1
	s_mov_b64 s[38:39], -1
                                        ; implicit-def: $vgpr0
	s_and_saveexec_b64 s[50:51], s[48:49]
	s_cbranch_execz .LBB4_84
	s_branch .LBB4_83
.LBB4_90:                               ;   in Loop: Header=BB4_78 Depth=2
	s_or_b64 exec, exec, s[90:91]
	s_xor_b64 s[28:29], s[92:93], -1
	s_and_saveexec_b64 s[90:91], s[28:29]
	s_xor_b64 s[28:29], exec, s[90:91]
	s_cbranch_execz .LBB4_92
; %bb.91:                               ;   in Loop: Header=BB4_78 Depth=2
	v_or_b32_e32 v57, 64, v57
	s_waitcnt lgkmcnt(0)
	ds_write_b32 v0, v0
	s_trap 2
.LBB4_92:                               ;   in Loop: Header=BB4_78 Depth=2
	s_or_b64 exec, exec, s[28:29]
.LBB4_93:                               ;   in Loop: Header=BB4_78 Depth=2
	s_or_b64 exec, exec, s[42:43]
	v_and_b32_e32 v0, 0x100, v57
	v_cmp_ne_u32_e32 vcc, 0, v0
	v_and_b32_e32 v0, 7, v50
	s_mov_b64 s[28:29], -1
	;;#ASMSTART
	s_wakeup
	;;#ASMEND
                                        ; implicit-def: $vgpr4_vgpr5
	s_and_saveexec_b64 s[42:43], vcc
	s_cbranch_execz .LBB4_97
; %bb.94:                               ;   in Loop: Header=BB4_78 Depth=2
	v_mad_u64_u32 v[50:51], s[28:29], v0, 24, v[12:13]
	v_ashrrev_i32_e32 v55, 31, v54
	flat_load_dword v4, v[50:51]
	s_nop 0
	flat_store_dwordx2 v[50:51], v[54:55] offset:8
	s_waitcnt vmcnt(0) lgkmcnt(0)
	v_cmp_ne_u32_e32 vcc, 1, v4
	v_cmp_eq_u32_e64 s[28:29], 1, v4
                                        ; implicit-def: $vgpr4_vgpr5
	s_and_saveexec_b64 s[90:91], s[28:29]
	s_cbranch_execz .LBB4_96
; %bb.95:                               ;   in Loop: Header=BB4_78 Depth=2
	flat_load_dword v4, v[50:51] offset:4 glc
	s_waitcnt vmcnt(0) lgkmcnt(0)
	v_ashrrev_i32_e32 v5, 31, v4
.LBB4_96:                               ;   in Loop: Header=BB4_78 Depth=2
	s_or_b64 exec, exec, s[90:91]
	s_orn2_b64 s[28:29], vcc, exec
.LBB4_97:                               ;   in Loop: Header=BB4_78 Depth=2
	s_or_b64 exec, exec, s[42:43]
	s_and_saveexec_b64 s[42:43], s[28:29]
; %bb.98:                               ;   in Loop: Header=BB4_78 Depth=2
	v_mad_i64_i32 v[4:5], s[28:29], v0, v60, 0
; %bb.99:                               ;   in Loop: Header=BB4_78 Depth=2
	s_or_b64 exec, exec, s[42:43]
	v_add_co_u32_e32 v4, vcc, v26, v4
	v_addc_co_u32_e32 v5, vcc, v27, v5, vcc
	ds_write_b64 v0, v[4:5] offset:792
	v_and_b32_e32 v0, 0x2000, v57
	v_cmp_ne_u32_e32 vcc, 0, v0
	s_and_saveexec_b64 s[28:29], vcc
	s_cbranch_execz .LBB4_101
; %bb.100:                              ;   in Loop: Header=BB4_78 Depth=2
	ds_read_b64 v[4:5], v0 offset:872
	s_waitcnt lgkmcnt(0)
	v_add_co_u32_e32 v4, vcc, 1, v4
	v_addc_co_u32_e32 v5, vcc, 0, v5, vcc
	ds_write_b64 v0, v[4:5] offset:872
.LBB4_101:                              ;   in Loop: Header=BB4_78 Depth=2
	s_or_b64 exec, exec, s[28:29]
	v_mov_b32_e32 v51, v3
	v_mov_b32_e32 v50, v2
.LBB4_102:                              ;   in Loop: Header=BB4_78 Depth=2
	s_or_b64 exec, exec, s[40:41]
	s_and_saveexec_b64 s[28:29], s[12:13]
	s_cbranch_execz .LBB4_121
; %bb.103:                              ;   in Loop: Header=BB4_78 Depth=2
	s_and_saveexec_b64 s[40:41], s[58:59]
	s_xor_b64 s[40:41], exec, s[40:41]
	s_cbranch_execz .LBB4_118
; %bb.104:                              ;   in Loop: Header=BB4_78 Depth=2
	s_and_saveexec_b64 s[42:43], s[6:7]
	s_cbranch_execz .LBB4_117
; %bb.105:                              ;   in Loop: Header=BB4_78 Depth=2
	s_mov_b64 s[92:93], exec
	v_mbcnt_lo_u32_b32 v0, s92, 0
	v_mbcnt_hi_u32_b32 v0, s93, v0
	v_cmp_eq_u32_e32 vcc, 0, v0
	s_waitcnt vmcnt(0) lgkmcnt(0)
	buffer_wbinvl1_vol
	s_and_saveexec_b64 s[90:91], vcc
	s_cbranch_execz .LBB4_107
; %bb.106:                              ;   in Loop: Header=BB4_78 Depth=2
	s_bcnt1_i32_b64 s92, s[92:93]
	v_mov_b32_e32 v34, s92
	ds_add_u64 v0, v[34:35]
	s_trap 2
.LBB4_107:                              ;   in Loop: Header=BB4_78 Depth=2
	s_or_b64 exec, exec, s[90:91]
	s_trap 2
	ds_read_b64 v[2:3], v0
	s_waitcnt lgkmcnt(0)
	v_add_co_u32_e32 v14, vcc, v14, v20
	v_addc_co_u32_e32 v15, vcc, 0, v15, vcc
	v_cmp_lt_u64_e32 vcc, v[2:3], v[14:15]
	s_and_saveexec_b64 s[90:91], vcc
	s_cbranch_execz .LBB4_116
; %bb.108:                              ;   in Loop: Header=BB4_78 Depth=2
	s_mov_b32 s38, 0
	s_mov_b64 s[92:93], 0
                                        ; implicit-def: $sgpr94_sgpr95
                                        ; implicit-def: $sgpr30_sgpr31
	s_branch .LBB4_110
.LBB4_109:                              ;   in Loop: Header=BB4_110 Depth=3
	s_or_b64 exec, exec, s[36:37]
	s_and_b64 vcc, exec, vcc
	s_or_b64 s[92:93], vcc, s[92:93]
	s_andn2_b64 s[94:95], s[94:95], exec
	s_and_b64 vcc, s[30:31], exec
	s_or_b64 s[94:95], s[94:95], vcc
	s_andn2_b64 exec, exec, s[92:93]
	s_cbranch_execz .LBB4_114
.LBB4_110:                              ;   Parent Loop BB4_73 Depth=1
                                        ;     Parent Loop BB4_78 Depth=2
                                        ; =>    This Inner Loop Header: Depth=3
	s_add_i32 s38, s38, 1
	s_cmpk_lg_i32 s38, 0x2710
	s_cselect_b64 s[34:35], -1, 0
	s_and_b64 vcc, exec, s[34:35]
	s_cbranch_vccz .LBB4_112
; %bb.111:                              ;   in Loop: Header=BB4_110 Depth=3
	s_mov_b64 vcc, -1
	s_or_b64 s[30:31], s[30:31], exec
	s_and_saveexec_b64 s[36:37], s[34:35]
	s_cbranch_execz .LBB4_109
	s_branch .LBB4_113
.LBB4_112:                              ;   in Loop: Header=BB4_110 Depth=3
	s_trap 2
	ds_read_b64 v[2:3], v0
	s_andn2_b64 s[34:35], s[34:35], exec
	s_mov_b32 s38, 0
	s_waitcnt lgkmcnt(0)
	flat_load_dword v0, v[2:3] glc
	s_waitcnt vmcnt(0) lgkmcnt(0)
	buffer_wbinvl1_vol
	v_cmp_eq_u32_e32 vcc, 0, v0
	s_and_b64 vcc, vcc, exec
	s_or_b64 s[34:35], s[34:35], vcc
	s_mov_b64 vcc, -1
	s_or_b64 s[30:31], s[30:31], exec
	s_and_saveexec_b64 s[36:37], s[34:35]
	s_cbranch_execz .LBB4_109
.LBB4_113:                              ;   in Loop: Header=BB4_110 Depth=3
	s_sleep 1
	s_trap 2
	ds_read_b64 v[2:3], v0
	s_waitcnt lgkmcnt(0)
	s_andn2_b64 s[30:31], s[30:31], exec
	v_cmp_ge_u64_e32 vcc, v[2:3], v[14:15]
	s_orn2_b64 vcc, vcc, exec
	s_branch .LBB4_109
.LBB4_114:                              ;   in Loop: Header=BB4_78 Depth=2
	s_or_b64 exec, exec, s[92:93]
	s_and_saveexec_b64 s[92:93], s[94:95]
	s_xor_b64 s[92:93], exec, s[92:93]
	s_cbranch_execz .LBB4_116
; %bb.115:                              ;   in Loop: Header=BB4_78 Depth=2
	ds_write_b32 v0, v10
	s_trap 2
.LBB4_116:                              ;   in Loop: Header=BB4_78 Depth=2
	s_or_b64 exec, exec, s[90:91]
	;;#ASMSTART
	s_wakeup
	;;#ASMEND
.LBB4_117:                              ;   in Loop: Header=BB4_78 Depth=2
	s_or_b64 exec, exec, s[42:43]
.LBB4_118:                              ;   in Loop: Header=BB4_78 Depth=2
	s_andn2_saveexec_b64 s[40:41], s[40:41]
	s_cbranch_execz .LBB4_120
; %bb.119:                              ;   in Loop: Header=BB4_78 Depth=2
	s_waitcnt vmcnt(0) lgkmcnt(0)
	buffer_wbinvl1_vol
	s_barrier
.LBB4_120:                              ;   in Loop: Header=BB4_78 Depth=2
	s_or_b64 exec, exec, s[40:41]
.LBB4_121:                              ;   in Loop: Header=BB4_78 Depth=2
	s_or_b64 exec, exec, s[28:29]
	s_trap 2
	ds_read_b32 v2, v0
	v_and_b32_e32 v0, 0x4000, v57
	v_cmp_ne_u32_e32 vcc, 0, v0
	s_xor_b64 s[28:29], s[10:11], -1
	s_and_b64 s[40:41], s[28:29], vcc
	s_and_saveexec_b64 s[28:29], s[40:41]
	s_cbranch_execz .LBB4_140
; %bb.122:                              ;   in Loop: Header=BB4_78 Depth=2
	s_and_saveexec_b64 s[40:41], s[58:59]
	s_xor_b64 s[40:41], exec, s[40:41]
	s_cbranch_execz .LBB4_137
; %bb.123:                              ;   in Loop: Header=BB4_78 Depth=2
	s_and_saveexec_b64 s[42:43], s[6:7]
	s_cbranch_execz .LBB4_136
; %bb.124:                              ;   in Loop: Header=BB4_78 Depth=2
	s_mov_b64 s[92:93], exec
	v_mbcnt_lo_u32_b32 v0, s92, 0
	v_mbcnt_hi_u32_b32 v0, s93, v0
	v_cmp_eq_u32_e32 vcc, 0, v0
	s_waitcnt vmcnt(0) lgkmcnt(0)
	buffer_wbinvl1_vol
	s_and_saveexec_b64 s[90:91], vcc
	s_cbranch_execz .LBB4_126
; %bb.125:                              ;   in Loop: Header=BB4_78 Depth=2
	s_bcnt1_i32_b64 s92, s[92:93]
	v_mov_b32_e32 v34, s92
	ds_add_u64 v0, v[34:35]
	s_trap 2
.LBB4_126:                              ;   in Loop: Header=BB4_78 Depth=2
	s_or_b64 exec, exec, s[90:91]
	s_trap 2
	ds_read_b64 v[3:4], v0
	s_waitcnt lgkmcnt(0)
	v_add_co_u32_e32 v14, vcc, v14, v20
	v_addc_co_u32_e32 v15, vcc, 0, v15, vcc
	v_cmp_lt_u64_e32 vcc, v[3:4], v[14:15]
	s_and_saveexec_b64 s[90:91], vcc
	s_cbranch_execz .LBB4_135
; %bb.127:                              ;   in Loop: Header=BB4_78 Depth=2
	s_mov_b32 s38, 0
	s_mov_b64 s[92:93], 0
                                        ; implicit-def: $sgpr94_sgpr95
                                        ; implicit-def: $sgpr30_sgpr31
	s_branch .LBB4_129
.LBB4_128:                              ;   in Loop: Header=BB4_129 Depth=3
	s_or_b64 exec, exec, s[36:37]
	s_and_b64 vcc, exec, vcc
	s_or_b64 s[92:93], vcc, s[92:93]
	s_andn2_b64 s[94:95], s[94:95], exec
	s_and_b64 vcc, s[30:31], exec
	s_or_b64 s[94:95], s[94:95], vcc
	s_andn2_b64 exec, exec, s[92:93]
	s_cbranch_execz .LBB4_133
.LBB4_129:                              ;   Parent Loop BB4_73 Depth=1
                                        ;     Parent Loop BB4_78 Depth=2
                                        ; =>    This Inner Loop Header: Depth=3
	s_add_i32 s38, s38, 1
	s_cmpk_lg_i32 s38, 0x2710
	s_cselect_b64 s[34:35], -1, 0
	s_and_b64 vcc, exec, s[34:35]
	s_cbranch_vccz .LBB4_131
; %bb.130:                              ;   in Loop: Header=BB4_129 Depth=3
	s_mov_b64 vcc, -1
	s_or_b64 s[30:31], s[30:31], exec
	s_and_saveexec_b64 s[36:37], s[34:35]
	s_cbranch_execz .LBB4_128
	s_branch .LBB4_132
.LBB4_131:                              ;   in Loop: Header=BB4_129 Depth=3
	s_trap 2
	ds_read_b64 v[3:4], v0
	s_andn2_b64 s[34:35], s[34:35], exec
	s_mov_b32 s38, 0
	s_waitcnt lgkmcnt(0)
	flat_load_dword v0, v[3:4] glc
	s_waitcnt vmcnt(0) lgkmcnt(0)
	buffer_wbinvl1_vol
	v_cmp_eq_u32_e32 vcc, 0, v0
	s_and_b64 vcc, vcc, exec
	s_or_b64 s[34:35], s[34:35], vcc
	s_mov_b64 vcc, -1
	s_or_b64 s[30:31], s[30:31], exec
	s_and_saveexec_b64 s[36:37], s[34:35]
	s_cbranch_execz .LBB4_128
.LBB4_132:                              ;   in Loop: Header=BB4_129 Depth=3
	s_sleep 1
	s_trap 2
	ds_read_b64 v[3:4], v0
	s_waitcnt lgkmcnt(0)
	s_andn2_b64 s[30:31], s[30:31], exec
	v_cmp_ge_u64_e32 vcc, v[3:4], v[14:15]
	s_orn2_b64 vcc, vcc, exec
	s_branch .LBB4_128
.LBB4_133:                              ;   in Loop: Header=BB4_78 Depth=2
	s_or_b64 exec, exec, s[92:93]
	s_and_saveexec_b64 s[92:93], s[94:95]
	s_xor_b64 s[92:93], exec, s[92:93]
	s_cbranch_execz .LBB4_135
; %bb.134:                              ;   in Loop: Header=BB4_78 Depth=2
	ds_write_b32 v0, v10
	s_trap 2
.LBB4_135:                              ;   in Loop: Header=BB4_78 Depth=2
	s_or_b64 exec, exec, s[90:91]
	;;#ASMSTART
	s_wakeup
	;;#ASMEND
.LBB4_136:                              ;   in Loop: Header=BB4_78 Depth=2
	s_or_b64 exec, exec, s[42:43]
.LBB4_137:                              ;   in Loop: Header=BB4_78 Depth=2
	s_andn2_saveexec_b64 s[40:41], s[40:41]
	s_cbranch_execz .LBB4_139
; %bb.138:                              ;   in Loop: Header=BB4_78 Depth=2
	s_waitcnt vmcnt(0) lgkmcnt(0)
	buffer_wbinvl1_vol
	s_barrier
.LBB4_139:                              ;   in Loop: Header=BB4_78 Depth=2
	s_or_b64 exec, exec, s[40:41]
.LBB4_140:                              ;   in Loop: Header=BB4_78 Depth=2
	s_or_b64 exec, exec, s[28:29]
	s_trap 2
	ds_read_b64 v[42:43], v0
	s_waitcnt lgkmcnt(0)
	v_cmp_eq_u64_e32 vcc, 0, v[42:43]
	s_cbranch_vccnz .LBB4_149
; %bb.141:                              ;   in Loop: Header=BB4_78 Depth=2
	s_trap 2
	ds_read_b64 v[44:45], v0
	s_waitcnt lgkmcnt(0)
	v_cmp_eq_u64_e32 vcc, 0, v[44:45]
	s_cbranch_vccnz .LBB4_149
; %bb.142:                              ;   in Loop: Header=BB4_78 Depth=2
	s_trap 2
	ds_read_b64 v[46:47], v0
	v_cmp_eq_u32_e64 s[28:29], 0, v2
	v_cndmask_b32_e64 v34, 0, v54, s[28:29]
	s_mov_b64 s[28:29], -1
	s_waitcnt lgkmcnt(0)
	v_cmp_ne_u64_e32 vcc, 0, v[46:47]
	s_cbranch_vccz .LBB4_183
; %bb.143:                              ;   in Loop: Header=BB4_78 Depth=2
	s_and_saveexec_b64 s[40:41], s[14:15]
	s_cbranch_execz .LBB4_145
; %bb.144:                              ;   in Loop: Header=BB4_78 Depth=2
	ds_read_b32 v0, v0 offset:720
	s_waitcnt lgkmcnt(0)
	v_and_b32_e32 v0, 15, v0
	v_cmp_eq_u32_e32 vcc, 0, v0
	s_orn2_b64 s[28:29], vcc, exec
.LBB4_145:                              ;   in Loop: Header=BB4_78 Depth=2
	s_or_b64 exec, exec, s[40:41]
	s_and_saveexec_b64 s[40:41], s[16:17]
	s_cbranch_execz .LBB4_147
; %bb.146:                              ;   in Loop: Header=BB4_78 Depth=2
	ds_read_b32 v0, v0 offset:784
	s_waitcnt lgkmcnt(0)
	v_and_b32_e32 v0, 15, v0
	v_cmp_eq_u32_e32 vcc, 0, v0
	s_and_b64 s[42:43], s[28:29], vcc
	s_andn2_b64 s[28:29], s[28:29], exec
	s_and_b64 s[42:43], s[42:43], exec
	s_or_b64 s[28:29], s[28:29], s[42:43]
.LBB4_147:                              ;   in Loop: Header=BB4_78 Depth=2
	s_or_b64 exec, exec, s[40:41]
	s_xor_b64 s[28:29], s[28:29], -1
	v_cndmask_b32_e64 v0, 0, 1, s[28:29]
	s_mov_b64 s[40:41], -1
	v_mov_b32_e32 v55, 0
	v_cmp_ne_u32_e32 vcc, 0, v0
	v_mov_b32_e32 v56, v34
	s_waitcnt vmcnt(0)
	v_mov_b32_e32 v48, v62
	v_mov_b32_e32 v0, v58
	s_cbranch_vccz .LBB4_155
; %bb.148:                              ;   in Loop: Header=BB4_78 Depth=2
	s_and_saveexec_b64 s[42:43], s[40:41]
	s_cbranch_execnz .LBB4_172
	s_branch .LBB4_182
.LBB4_149:                              ;   in Loop: Header=BB4_78 Depth=2
	s_mov_b64 s[28:29], 0
	s_and_saveexec_b64 s[40:41], s[12:13]
	s_cbranch_execnz .LBB4_213
.LBB4_150:                              ;   in Loop: Header=BB4_78 Depth=2
	s_or_b64 exec, exec, s[40:41]
                                        ; implicit-def: $vgpr0
	s_and_saveexec_b64 s[40:41], s[18:19]
	s_xor_b64 s[40:41], exec, s[40:41]
	s_cbranch_execz .LBB4_231
.LBB4_151:                              ;   in Loop: Header=BB4_78 Depth=2
	v_and_b32_e32 v2, 16, v57
	v_cmp_ne_u32_e32 vcc, 0, v2
	v_and_b32_e32 v0, 16, v57
	s_and_b64 s[42:43], vcc, s[28:29]
	s_and_saveexec_b64 s[28:29], s[42:43]
	s_cbranch_execz .LBB4_153
; %bb.152:                              ;   in Loop: Header=BB4_78 Depth=2
	v_mov_b32_e32 v0, 1
	s_waitcnt vmcnt(0) lgkmcnt(0)
	buffer_wbinvl1_vol
.LBB4_153:                              ;   in Loop: Header=BB4_78 Depth=2
	s_or_b64 exec, exec, s[28:29]
	s_andn2_saveexec_b64 s[28:29], s[40:41]
	s_cbranch_execnz .LBB4_232
.LBB4_154:                              ;   in Loop: Header=BB4_78 Depth=2
	s_or_b64 exec, exec, s[28:29]
	v_cmp_ne_u32_e32 vcc, 0, v0
	s_and_saveexec_b64 s[28:29], vcc
	s_cbranch_execz .LBB4_77
	s_branch .LBB4_250
.LBB4_155:                              ;   in Loop: Header=BB4_78 Depth=2
	buffer_load_dword v0, off, s[0:3], s33 offset:64 ; 4-byte Folded Reload
	s_waitcnt vmcnt(0)
	v_sub_u32_e32 v36, v34, v0
	v_ashrrev_i32_e32 v0, 31, v34
	v_lshrrev_b32_e32 v0, 22, v0
	v_add_u32_e32 v0, v34, v0
	v_ashrrev_i32_e32 v2, 10, v0
	v_and_b32_e32 v23, 0xfffffc00, v0
	buffer_load_dword v0, off, s[0:3], s33 offset:68 ; 4-byte Folded Reload
	v_sub_u32_e32 v49, v34, v23
	v_cmp_lt_i32_e64 s[28:29], 15, v49
	s_waitcnt vmcnt(0)
	v_addc_co_u32_e64 v30, vcc, v2, v0, s[28:29]
	v_cmp_lt_i32_e32 vcc, 15, v36
	s_and_saveexec_b64 s[90:91], vcc
	s_cbranch_execz .LBB4_161
; %bb.156:                              ;   in Loop: Header=BB4_78 Depth=2
	buffer_load_dword v0, off, s[0:3], s33 offset:64 ; 4-byte Folded Reload
	buffer_load_dword v2, off, s[0:3], s33 offset:84 ; 4-byte Folded Reload
	s_mov_b64 s[92:93], 0
	s_waitcnt vmcnt(1)
	v_add_co_u32_e32 v55, vcc, v42, v0
	s_waitcnt vmcnt(0)
	v_addc_co_u32_e32 v56, vcc, v43, v2, vcc
	v_add_co_u32_e32 v48, vcc, v44, v0
	v_addc_co_u32_e32 v52, vcc, v45, v2, vcc
	v_add_co_u32_e32 v38, vcc, v46, v0
	v_addc_co_u32_e32 v0, vcc, v47, v2, vcc
.LBB4_157:                              ;   Parent Loop BB4_73 Depth=1
                                        ;     Parent Loop BB4_78 Depth=2
                                        ; =>    This Loop Header: Depth=3
                                        ;         Child Loop BB4_158 Depth 4
	global_load_dwordx4 v[2:5], v[55:56], off glc slc
	s_mov_b64 s[94:95], -1
	s_mov_b64 s[30:31], 0
	s_waitcnt vmcnt(0)
.LBB4_158:                              ;   Parent Loop BB4_73 Depth=1
                                        ;     Parent Loop BB4_78 Depth=2
                                        ;       Parent Loop BB4_157 Depth=3
                                        ; =>      This Inner Loop Header: Depth=4
	s_cmp_eq_u32 s30, 1
	s_cselect_b64 s[40:41], -1, 0
	v_cndmask_b32_e64 v8, v52, v0, s[40:41]
	v_cndmask_b32_e64 v7, v48, v38, s[40:41]
	global_store_dwordx4 v[7:8], v[2:5], off glc slc
	v_add_co_u32_e32 v7, vcc, 0x400, v7
	s_cmp_eq_u32 s30, 0
	v_addc_co_u32_e32 v8, vcc, 0, v8, vcc
	s_cselect_b64 vcc, -1, 0
	s_and_b64 s[42:43], exec, s[94:95]
	s_mov_b64 s[30:31], 1
	v_cndmask_b32_e64 v38, v38, v7, s[40:41]
	s_mov_b64 s[94:95], 0
	v_cndmask_b32_e64 v0, v0, v8, s[40:41]
	v_cndmask_b32_e32 v52, v52, v8, vcc
	v_cndmask_b32_e32 v48, v48, v7, vcc
	s_mov_b64 vcc, s[42:43]
	s_cbranch_vccnz .LBB4_158
; %bb.159:                              ;   in Loop: Header=BB4_157 Depth=3
	v_add_co_u32_e32 v48, vcc, v48, v61
	v_addc_co_u32_e32 v52, vcc, v52, v31, vcc
	v_add_co_u32_e32 v38, vcc, v38, v61
	v_addc_co_u32_e32 v0, vcc, v0, v31, vcc
	;; [unrolled: 2-line block ×3, first 2 shown]
	v_sub_u32_e32 v36, v36, v37
	v_cmp_gt_i32_e32 vcc, 16, v36
	s_or_b64 s[92:93], vcc, s[92:93]
	v_sub_u32_e32 v30, v30, v20
	s_andn2_b64 exec, exec, s[92:93]
	s_cbranch_execnz .LBB4_157
; %bb.160:                              ;   in Loop: Header=BB4_78 Depth=2
	s_or_b64 exec, exec, s[92:93]
	v_mov_b32_e32 v52, 0xd0
	v_mov_b32_e32 v38, 0x88
.LBB4_161:                              ;   in Loop: Header=BB4_78 Depth=2
	s_or_b64 exec, exec, s[90:91]
	v_and_b32_e32 v2, 15, v34
	v_cndmask_b32_e64 v36, v49, v2, s[28:29]
	v_mov_b32_e32 v55, 0
	v_cmp_ne_u32_e32 vcc, 0, v36
	s_mov_b64 s[40:41], 0
                                        ; implicit-def: $vgpr56
                                        ; implicit-def: $vgpr48
                                        ; implicit-def: $vgpr0
	s_and_saveexec_b64 s[90:91], vcc
	s_cbranch_execz .LBB4_171
; %bb.162:                              ;   in Loop: Header=BB4_78 Depth=2
	v_sub_u32_e32 v0, v49, v2
	buffer_load_dword v2, off, s[0:3], s33 offset:72 ; 4-byte Folded Reload
	v_cndmask_b32_e64 v0, 0, v0, s[28:29]
	v_cmp_lt_i32_e32 vcc, 0, v30
	v_add_u32_e32 v49, v0, v23
	v_cndmask_b32_e32 v0, 0, v20, vcc
	v_sub_u32_e32 v0, v0, v30
	s_waitcnt vmcnt(0)
	v_lshl_add_u32 v0, v0, 6, v2
	v_ashrrev_i32_e32 v2, 31, v0
	v_lshrrev_b32_e32 v2, 26, v2
	v_add_u32_e32 v2, v0, v2
	v_ashrrev_i32_e32 v3, 6, v2
	v_and_b32_e32 v2, 0xffffffc0, v2
	v_sub_u32_e32 v58, v0, v2
	v_ashrrev_i32_e32 v2, 31, v36
	v_lshrrev_b32_e32 v2, 22, v2
	v_add_u32_e32 v2, v36, v2
	v_and_b32_e32 v30, 0xfffffc00, v2
	v_lshlrev_b32_e32 v0, 4, v58
	v_sub_u32_e32 v52, v36, v30
	v_lshl_add_u32 v0, v3, 10, v0
	v_ashrrev_i32_e32 v4, 10, v2
	v_cmp_lt_i32_e64 s[28:29], 15, v52
	v_sub_u32_e32 v48, v36, v0
	v_addc_co_u32_e64 v2, vcc, 0, v4, s[28:29]
	v_sub_u32_e32 v23, v2, v3
	v_cmp_lt_i32_e32 vcc, 15, v48
	s_and_saveexec_b64 s[92:93], vcc
	s_cbranch_execz .LBB4_168
; %bb.163:                              ;   in Loop: Header=BB4_78 Depth=2
	v_add_u32_e32 v0, v0, v49
	v_ashrrev_i32_e32 v2, 31, v0
	v_add_co_u32_e32 v55, vcc, v0, v42
	v_addc_co_u32_e32 v56, vcc, v2, v43, vcc
	v_add_co_u32_e32 v53, vcc, v0, v44
	v_addc_co_u32_e32 v62, vcc, v2, v45, vcc
	;; [unrolled: 2-line block ×3, first 2 shown]
	s_mov_b64 s[94:95], 0
.LBB4_164:                              ;   Parent Loop BB4_73 Depth=1
                                        ;     Parent Loop BB4_78 Depth=2
                                        ; =>    This Loop Header: Depth=3
                                        ;         Child Loop BB4_165 Depth 4
	global_load_dwordx4 v[2:5], v[55:56], off glc slc
	s_mov_b64 s[30:31], -1
	s_mov_b64 s[34:35], 0
	s_waitcnt vmcnt(0)
.LBB4_165:                              ;   Parent Loop BB4_73 Depth=1
                                        ;     Parent Loop BB4_78 Depth=2
                                        ;       Parent Loop BB4_164 Depth=3
                                        ; =>      This Inner Loop Header: Depth=4
	s_cmp_eq_u32 s34, 1
	s_cselect_b64 s[40:41], -1, 0
	v_cndmask_b32_e64 v8, v62, v0, s[40:41]
	v_cndmask_b32_e64 v7, v53, v38, s[40:41]
	global_store_dwordx4 v[7:8], v[2:5], off glc slc
	v_add_co_u32_e32 v7, vcc, 0x400, v7
	s_cmp_eq_u32 s34, 0
	v_addc_co_u32_e32 v8, vcc, 0, v8, vcc
	s_cselect_b64 vcc, -1, 0
	s_and_b64 s[42:43], exec, s[30:31]
	s_mov_b64 s[34:35], 1
	v_cndmask_b32_e64 v38, v38, v7, s[40:41]
	s_mov_b64 s[30:31], 0
	v_cndmask_b32_e64 v0, v0, v8, s[40:41]
	v_cndmask_b32_e32 v62, v62, v8, vcc
	v_cndmask_b32_e32 v53, v53, v7, vcc
	s_mov_b64 vcc, s[42:43]
	s_cbranch_vccnz .LBB4_165
; %bb.166:                              ;   in Loop: Header=BB4_164 Depth=3
	v_add_co_u32_e32 v53, vcc, v53, v61
	v_addc_co_u32_e32 v62, vcc, v62, v31, vcc
	v_add_co_u32_e32 v38, vcc, v38, v61
	v_addc_co_u32_e32 v0, vcc, v0, v31, vcc
	;; [unrolled: 2-line block ×3, first 2 shown]
	v_sub_u32_e32 v48, v48, v37
	v_cmp_gt_i32_e32 vcc, 16, v48
	s_or_b64 s[94:95], vcc, s[94:95]
	v_sub_u32_e32 v23, v23, v20
	s_andn2_b64 exec, exec, s[94:95]
	s_cbranch_execnz .LBB4_164
; %bb.167:                              ;   in Loop: Header=BB4_78 Depth=2
	s_or_b64 exec, exec, s[94:95]
	buffer_load_dword v62, off, s[0:3], s33 offset:116 ; 4-byte Folded Reload
	v_lshlrev_b32_e32 v53, 11, v20
	v_mov_b32_e32 v38, 0x88
.LBB4_168:                              ;   in Loop: Header=BB4_78 Depth=2
	s_or_b64 exec, exec, s[92:93]
	v_and_b32_e32 v2, 15, v36
	v_cndmask_b32_e64 v56, v52, v2, s[28:29]
	v_mov_b32_e32 v55, 0
	v_cmp_ne_u32_e32 vcc, 0, v56
	s_mov_b64 s[42:43], 0
                                        ; implicit-def: $vgpr48
                                        ; implicit-def: $vgpr0
	s_and_saveexec_b64 s[40:41], vcc
	s_cbranch_execz .LBB4_170
; %bb.169:                              ;   in Loop: Header=BB4_78 Depth=2
	v_sub_u32_e32 v0, v52, v2
	v_cndmask_b32_e64 v0, 0, v0, s[28:29]
	v_cmp_lt_i32_e32 vcc, 0, v23
	v_add3_u32 v55, v30, v49, v0
	v_cndmask_b32_e32 v0, 0, v20, vcc
	v_sub_u32_e32 v0, v0, v23
	v_lshl_add_u32 v48, v0, 6, v58
	v_ashrrev_i32_e32 v0, 31, v48
	v_lshrrev_b32_e32 v0, 26, v0
	v_add_u32_e32 v0, v48, v0
	v_ashrrev_i32_e32 v0, 6, v0
	s_mov_b64 s[42:43], exec
.LBB4_170:                              ;   in Loop: Header=BB4_78 Depth=2
	s_or_b64 exec, exec, s[40:41]
	buffer_load_dword v58, off, s[0:3], s33 offset:60 ; 4-byte Folded Reload
	s_and_b64 s[40:41], s[42:43], exec
	v_mov_b32_e32 v52, 0xd0
.LBB4_171:                              ;   in Loop: Header=BB4_78 Depth=2
	s_or_b64 exec, exec, s[90:91]
	s_and_saveexec_b64 s[42:43], s[40:41]
	s_cbranch_execz .LBB4_182
.LBB4_172:                              ;   in Loop: Header=BB4_78 Depth=2
	v_ashrrev_i32_e32 v2, 31, v56
	v_lshrrev_b32_e32 v2, 23, v2
	v_add_u32_e32 v2, v56, v2
	v_ashrrev_i32_e32 v36, 9, v2
	v_sub_u32_e32 v49, v36, v0
	v_cmp_lt_i32_e32 vcc, 0, v49
	s_and_saveexec_b64 s[28:29], vcc
	s_cbranch_execz .LBB4_176
; %bb.173:                              ;   in Loop: Header=BB4_78 Depth=2
	v_ashrrev_i32_e32 v2, 31, v48
	v_lshrrev_b32_e32 v2, 26, v2
	v_add_u32_e32 v2, v48, v2
	v_and_b32_e32 v2, 0xffffffc0, v2
	v_sub_u32_e32 v2, v48, v2
	v_lshlrev_b32_e32 v0, 9, v0
	v_add3_u32 v0, v55, v2, v0
	v_ashrrev_i32_e32 v7, 31, v0
	v_add_co_u32_e32 v2, vcc, v0, v44
	v_addc_co_u32_e32 v3, vcc, v7, v45, vcc
	v_add_co_u32_e32 v4, vcc, v0, v46
	v_addc_co_u32_e32 v5, vcc, v7, v47, vcc
	;; [unrolled: 2-line block ×4, first 2 shown]
	s_mov_b64 s[40:41], 0
.LBB4_174:                              ;   Parent Loop BB4_73 Depth=1
                                        ;     Parent Loop BB4_78 Depth=2
                                        ; =>    This Inner Loop Header: Depth=3
	v_add_co_u32_e32 v7, vcc, 0xfffffe40, v46
	v_addc_co_u32_e32 v8, vcc, -1, v47, vcc
	flat_load_ubyte v23, v[7:8] glc slc
	v_add_co_u32_e32 v7, vcc, 0xfffffe80, v46
	v_addc_co_u32_e32 v8, vcc, -1, v47, vcc
	flat_load_ubyte v0, v[7:8] glc slc
	;; [unrolled: 3-line block ×7, first 2 shown]
	s_nop 0
	flat_load_ubyte v8, v[46:47] glc slc
	v_sub_u32_e32 v49, v49, v20
	s_waitcnt vmcnt(0) lgkmcnt(0)
	flat_store_byte v[2:3], v23 glc slc
	flat_store_byte v[2:3], v0 offset:64 glc slc
	flat_store_byte v[2:3], v9 offset:128 glc slc
	;; [unrolled: 1-line block ×7, first 2 shown]
	flat_store_byte v[4:5], v23 glc slc
	flat_store_byte v[4:5], v0 offset:64 glc slc
	flat_store_byte v[4:5], v9 offset:128 glc slc
	;; [unrolled: 1-line block ×7, first 2 shown]
	v_add_co_u32_e32 v2, vcc, v2, v19
	v_addc_co_u32_e32 v3, vcc, 0, v3, vcc
	v_add_co_u32_e32 v4, vcc, v4, v19
	v_addc_co_u32_e32 v5, vcc, 0, v5, vcc
	v_add_co_u32_e32 v46, vcc, v46, v19
	v_addc_co_u32_e32 v47, vcc, 0, v47, vcc
	v_cmp_gt_i32_e32 vcc, 1, v49
	s_or_b64 s[40:41], vcc, s[40:41]
	s_andn2_b64 exec, exec, s[40:41]
	s_cbranch_execnz .LBB4_174
; %bb.175:                              ;   in Loop: Header=BB4_78 Depth=2
	s_or_b64 exec, exec, s[40:41]
	v_mov_b32_e32 v10, 1
	v_mov_b32_e32 v38, 0x88
.LBB4_176:                              ;   in Loop: Header=BB4_78 Depth=2
	s_or_b64 exec, exec, s[28:29]
	v_lshlrev_b32_e32 v0, 9, v36
	v_cmp_ne_u32_e32 vcc, v56, v0
	s_and_b64 exec, exec, vcc
	s_cbranch_execz .LBB4_182
; %bb.177:                              ;   in Loop: Header=BB4_78 Depth=2
	v_ashrrev_i32_e32 v2, 31, v48
	v_lshrrev_b32_e32 v2, 26, v2
	v_add_u32_e32 v2, v48, v2
	v_and_b32_e32 v2, 0xffffffc0, v2
	v_sub_u32_e32 v2, v48, v2
	v_lshlrev_b32_e32 v3, 6, v49
	v_sub_u32_e32 v2, v2, v3
	v_add_u32_e32 v0, v0, v2
	v_sub_u32_e32 v4, v56, v0
	v_cmp_lt_i32_e32 vcc, 0, v4
	s_and_b64 exec, exec, vcc
	s_cbranch_execz .LBB4_182
; %bb.178:                              ;   in Loop: Header=BB4_78 Depth=2
	s_trap 2
	ds_read_b64 v[2:3], v0
	ds_read_b128 v[38:41], v0
	v_add_u32_e32 v7, v0, v55
	v_ashrrev_i32_e32 v8, 31, v7
	s_mov_b64 s[90:91], 0
	s_waitcnt lgkmcnt(0)
	v_add_co_u32_e32 v2, vcc, v2, v7
	v_addc_co_u32_e32 v3, vcc, v3, v8, vcc
	v_add_co_u32_e32 v0, vcc, v38, v7
	v_addc_co_u32_e32 v5, vcc, v39, v8, vcc
	;; [unrolled: 2-line block ×3, first 2 shown]
	buffer_load_dword v41, off, s[0:3], s33 offset:96 ; 4-byte Folded Reload
	v_mov_b32_e32 v38, 0x88
	v_ashrrev_i32_e32 v39, 31, v60
.LBB4_179:                              ;   Parent Loop BB4_73 Depth=1
                                        ;     Parent Loop BB4_78 Depth=2
                                        ; =>    This Loop Header: Depth=3
                                        ;         Child Loop BB4_180 Depth 4
	flat_load_ubyte v36, v[2:3] glc slc
	s_mov_b64 s[92:93], -1
	s_mov_b64 s[94:95], 0
	s_waitcnt vmcnt(0)
.LBB4_180:                              ;   Parent Loop BB4_73 Depth=1
                                        ;     Parent Loop BB4_78 Depth=2
                                        ;       Parent Loop BB4_179 Depth=3
                                        ; =>      This Inner Loop Header: Depth=4
	s_cmp_eq_u32 s94, 1
	s_cselect_b64 vcc, -1, 0
	v_cndmask_b32_e32 v8, v5, v30, vcc
	v_cndmask_b32_e32 v7, v0, v23, vcc
	s_waitcnt lgkmcnt(0)
	flat_store_byte v[7:8], v36 glc slc
	v_add_co_u32_e64 v7, s[28:29], 64, v7
	s_cmp_eq_u32 s94, 0
	v_addc_co_u32_e64 v8, s[28:29], 0, v8, s[28:29]
	s_cselect_b64 s[28:29], -1, 0
	s_and_b64 s[40:41], exec, s[92:93]
	s_mov_b64 s[94:95], 1
	s_mov_b64 s[92:93], 0
	v_cndmask_b32_e32 v30, v30, v8, vcc
	v_cndmask_b32_e32 v23, v23, v7, vcc
	v_cndmask_b32_e64 v5, v5, v8, s[28:29]
	v_cndmask_b32_e64 v0, v0, v7, s[28:29]
	s_mov_b64 vcc, s[40:41]
	s_cbranch_vccnz .LBB4_180
; %bb.181:                              ;   in Loop: Header=BB4_179 Depth=3
	v_add_co_u32_e32 v0, vcc, v0, v21
	v_addc_co_u32_e32 v5, vcc, v5, v59, vcc
	v_add_co_u32_e32 v23, vcc, v23, v21
	v_addc_co_u32_e32 v30, vcc, v30, v59, vcc
	v_sub_u32_e32 v4, v4, v16
	v_cmp_gt_i32_e32 vcc, 1, v4
	s_or_b64 s[90:91], vcc, s[90:91]
	v_add_co_u32_e32 v2, vcc, v11, v2
	v_addc_co_u32_e32 v3, vcc, v6, v3, vcc
	s_andn2_b64 exec, exec, s[90:91]
	s_cbranch_execnz .LBB4_179
.LBB4_182:                              ;   in Loop: Header=BB4_78 Depth=2
	s_or_b64 exec, exec, s[42:43]
	s_mov_b64 s[28:29], 0
.LBB4_183:                              ;   in Loop: Header=BB4_78 Depth=2
	s_and_b64 vcc, exec, s[28:29]
	s_cbranch_vccz .LBB4_212
; %bb.184:                              ;   in Loop: Header=BB4_78 Depth=2
	s_mov_b64 s[28:29], -1
	s_and_saveexec_b64 s[40:41], s[14:15]
	s_cbranch_execz .LBB4_186
; %bb.185:                              ;   in Loop: Header=BB4_78 Depth=2
	ds_read_b32 v0, v0 offset:720
	s_waitcnt lgkmcnt(0)
	v_and_b32_e32 v0, 15, v0
	v_cmp_eq_u32_e32 vcc, 0, v0
	s_orn2_b64 s[28:29], vcc, exec
.LBB4_186:                              ;   in Loop: Header=BB4_78 Depth=2
	s_or_b64 exec, exec, s[40:41]
	s_and_saveexec_b64 s[40:41], s[14:15]
	s_cbranch_execz .LBB4_188
; %bb.187:                              ;   in Loop: Header=BB4_78 Depth=2
	ds_read_b32 v0, v0 offset:784
	s_waitcnt lgkmcnt(0)
	v_and_b32_e32 v0, 15, v0
	v_cmp_eq_u32_e32 vcc, 0, v0
	s_and_b64 s[42:43], s[28:29], vcc
	s_andn2_b64 s[28:29], s[28:29], exec
	s_and_b64 s[42:43], s[42:43], exec
	s_or_b64 s[28:29], s[28:29], s[42:43]
.LBB4_188:                              ;   in Loop: Header=BB4_78 Depth=2
	s_or_b64 exec, exec, s[40:41]
	s_xor_b64 s[28:29], s[28:29], -1
	v_cndmask_b32_e64 v0, 0, 1, s[28:29]
	s_mov_b64 s[42:43], -1
	v_mov_b32_e32 v2, 0
	v_cmp_ne_u32_e32 vcc, 0, v0
	v_mov_b32_e32 v3, v34
	s_waitcnt vmcnt(0)
	v_mov_b32_e32 v4, v62
	v_mov_b32_e32 v5, v58
	s_cbranch_vccz .LBB4_190
; %bb.189:                              ;   in Loop: Header=BB4_78 Depth=2
	s_and_saveexec_b64 s[28:29], s[42:43]
	s_cbranch_execnz .LBB4_203
	s_branch .LBB4_211
.LBB4_190:                              ;   in Loop: Header=BB4_78 Depth=2
	v_ashrrev_i32_e32 v0, 31, v34
	v_lshrrev_b32_e32 v0, 21, v0
	v_add_u32_e32 v0, v34, v0
	v_ashrrev_i32_e32 v0, 11, v0
	v_sub_u32_e32 v23, v0, v58
	v_cmp_lt_i32_e32 vcc, 0, v23
	s_and_saveexec_b64 s[28:29], vcc
	s_cbranch_execz .LBB4_194
; %bb.191:                              ;   in Loop: Header=BB4_78 Depth=2
	buffer_load_dword v2, off, s[0:3], s33 offset:88 ; 4-byte Folded Reload
	buffer_load_dword v3, off, s[0:3], s33 offset:92 ; 4-byte Folded Reload
	s_mov_b64 s[40:41], 0
.LBB4_192:                              ;   Parent Loop BB4_73 Depth=1
                                        ;     Parent Loop BB4_78 Depth=2
                                        ; =>    This Inner Loop Header: Depth=3
	s_waitcnt vmcnt(0)
	v_add_co_u32_e32 v4, vcc, v42, v2
	v_addc_co_u32_e32 v5, vcc, v43, v3, vcc
	global_load_dwordx4 v[46:49], v[4:5], off glc slc
	global_load_dwordx4 v[38:41], v[4:5], off offset:1024 glc slc
	v_add_co_u32_e32 v4, vcc, v44, v2
	v_addc_co_u32_e32 v5, vcc, v45, v3, vcc
	v_add_co_u32_e32 v2, vcc, v2, v53
	v_sub_u32_e32 v23, v23, v20
	v_addc_co_u32_e32 v3, vcc, 0, v3, vcc
	v_cmp_gt_i32_e32 vcc, 1, v23
	s_or_b64 s[40:41], vcc, s[40:41]
	s_waitcnt vmcnt(0)
	global_store_dwordx4 v[4:5], v[46:49], off glc slc
	global_store_dwordx4 v[4:5], v[38:41], off offset:1024 glc slc
	s_andn2_b64 exec, exec, s[40:41]
	s_cbranch_execnz .LBB4_192
; %bb.193:                              ;   in Loop: Header=BB4_78 Depth=2
	s_or_b64 exec, exec, s[40:41]
	buffer_load_dword v41, off, s[0:3], s33 offset:96 ; 4-byte Folded Reload
	v_ashrrev_i32_e32 v39, 31, v60
	v_mov_b32_e32 v38, 0x88
.LBB4_194:                              ;   in Loop: Header=BB4_78 Depth=2
	s_or_b64 exec, exec, s[28:29]
	v_lshlrev_b32_e32 v0, 11, v0
	v_cmp_ne_u32_e32 vcc, v34, v0
	s_mov_b64 s[42:43], 0
	v_mov_b32_e32 v2, 0
                                        ; implicit-def: $vgpr3
                                        ; implicit-def: $vgpr4
                                        ; implicit-def: $vgpr5
	s_and_saveexec_b64 s[40:41], vcc
	s_cbranch_execz .LBB4_202
; %bb.195:                              ;   in Loop: Header=BB4_78 Depth=2
	buffer_load_dword v3, off, s[0:3], s33 offset:72 ; 4-byte Folded Reload
	v_lshlrev_b32_e32 v2, 6, v23
	v_sub_u32_e32 v4, v34, v0
	v_ashrrev_i32_e32 v7, 31, v4
	v_lshrrev_b32_e32 v7, 22, v7
	v_add_u32_e32 v7, v4, v7
	v_and_b32_e32 v30, 0xfffffc00, v7
	v_sub_u32_e32 v38, v4, v30
	v_ashrrev_i32_e32 v8, 10, v7
	v_cmp_lt_i32_e32 vcc, 15, v38
	s_waitcnt vmcnt(0)
	v_sub_u32_e32 v2, v3, v2
	v_ashrrev_i32_e32 v3, 31, v2
	v_lshrrev_b32_e32 v3, 26, v3
	v_add_u32_e32 v3, v2, v3
	v_ashrrev_i32_e32 v5, 6, v3
	v_and_b32_e32 v3, 0xffffffc0, v3
	v_sub_u32_e32 v23, v2, v3
	v_lshlrev_b32_e32 v2, 4, v23
	v_lshl_add_u32 v3, v5, 10, v2
	v_sub_u32_e32 v2, v4, v3
	v_addc_co_u32_e64 v4, s[28:29], 0, v8, vcc
	v_sub_u32_e32 v36, v4, v5
	v_cmp_lt_i32_e64 s[28:29], 15, v2
	s_and_saveexec_b64 s[42:43], s[28:29]
	s_cbranch_execz .LBB4_199
; %bb.196:                              ;   in Loop: Header=BB4_78 Depth=2
	v_add_u32_e32 v3, v3, v0
	v_ashrrev_i32_e32 v4, 31, v3
	s_mov_b64 s[90:91], 0
.LBB4_197:                              ;   Parent Loop BB4_73 Depth=1
                                        ;     Parent Loop BB4_78 Depth=2
                                        ; =>    This Inner Loop Header: Depth=3
	v_add_co_u32_e64 v7, s[28:29], v42, v3
	v_addc_co_u32_e64 v8, s[28:29], v43, v4, s[28:29]
	global_load_dwordx4 v[46:49], v[7:8], off glc slc
	v_add_co_u32_e64 v7, s[28:29], v44, v3
	v_addc_co_u32_e64 v8, s[28:29], v45, v4, s[28:29]
	v_add_co_u32_e64 v3, s[28:29], v3, v1
	v_sub_u32_e32 v2, v2, v37
	v_addc_co_u32_e64 v4, s[28:29], v4, v18, s[28:29]
	v_cmp_gt_i32_e64 s[28:29], 16, v2
	v_sub_u32_e32 v36, v36, v20
	s_or_b64 s[90:91], s[28:29], s[90:91]
	s_waitcnt vmcnt(0)
	global_store_dwordx4 v[7:8], v[46:49], off glc slc
	s_andn2_b64 exec, exec, s[90:91]
	s_cbranch_execnz .LBB4_197
; %bb.198:                              ;   in Loop: Header=BB4_78 Depth=2
	s_or_b64 exec, exec, s[90:91]
.LBB4_199:                              ;   in Loop: Header=BB4_78 Depth=2
	s_or_b64 exec, exec, s[42:43]
	v_and_b32_e32 v48, 15, v34
	v_cndmask_b32_e32 v3, v38, v48, vcc
	v_mov_b32_e32 v2, 0
	v_cmp_ne_u32_e64 s[28:29], 0, v3
	s_mov_b64 s[90:91], 0
                                        ; implicit-def: $vgpr4
                                        ; implicit-def: $vgpr5
	s_and_saveexec_b64 s[42:43], s[28:29]
	s_cbranch_execz .LBB4_201
; %bb.200:                              ;   in Loop: Header=BB4_78 Depth=2
	v_sub_u32_e32 v2, v38, v48
	v_cndmask_b32_e32 v2, 0, v2, vcc
	v_cmp_lt_i32_e32 vcc, 0, v36
	v_add3_u32 v2, v30, v0, v2
	v_cndmask_b32_e32 v0, 0, v20, vcc
	v_sub_u32_e32 v0, v0, v36
	v_lshl_add_u32 v4, v0, 6, v23
	v_ashrrev_i32_e32 v0, 31, v4
	v_lshrrev_b32_e32 v0, 26, v0
	v_add_u32_e32 v0, v4, v0
	v_ashrrev_i32_e32 v5, 6, v0
	s_mov_b64 s[90:91], exec
.LBB4_201:                              ;   in Loop: Header=BB4_78 Depth=2
	s_or_b64 exec, exec, s[42:43]
	s_and_b64 s[42:43], s[90:91], exec
	v_mov_b32_e32 v38, 0x88
.LBB4_202:                              ;   in Loop: Header=BB4_78 Depth=2
	s_or_b64 exec, exec, s[40:41]
	s_and_saveexec_b64 s[28:29], s[42:43]
	s_cbranch_execz .LBB4_211
.LBB4_203:                              ;   in Loop: Header=BB4_78 Depth=2
	v_ashrrev_i32_e32 v0, 31, v3
	v_lshrrev_b32_e32 v0, 23, v0
	v_add_u32_e32 v0, v3, v0
	v_ashrrev_i32_e32 v23, 9, v0
	v_sub_u32_e32 v0, v23, v5
	v_cmp_lt_i32_e32 vcc, 0, v0
	s_and_saveexec_b64 s[40:41], vcc
	s_cbranch_execz .LBB4_207
; %bb.204:                              ;   in Loop: Header=BB4_78 Depth=2
	v_ashrrev_i32_e32 v7, 31, v4
	v_lshrrev_b32_e32 v7, 26, v7
	v_add_u32_e32 v7, v4, v7
	v_and_b32_e32 v7, 0xffffffc0, v7
	v_sub_u32_e32 v7, v4, v7
	v_lshlrev_b32_e32 v5, 9, v5
	v_add3_u32 v5, v2, v7, v5
	v_ashrrev_i32_e32 v30, 31, v5
	s_mov_b64 s[42:43], 0
.LBB4_205:                              ;   Parent Loop BB4_73 Depth=1
                                        ;     Parent Loop BB4_78 Depth=2
                                        ; =>    This Inner Loop Header: Depth=3
	v_add_co_u32_e32 v7, vcc, v5, v42
	v_addc_co_u32_e32 v8, vcc, v30, v43, vcc
	flat_load_ubyte v9, v[7:8] glc slc
	flat_load_ubyte v10, v[7:8] offset:64 glc slc
	flat_load_ubyte v36, v[7:8] offset:128 glc slc
	;; [unrolled: 1-line block ×7, first 2 shown]
	v_add_co_u32_e32 v7, vcc, v5, v44
	v_addc_co_u32_e32 v8, vcc, v30, v45, vcc
	v_add_co_u32_e32 v42, vcc, v42, v19
	v_addc_co_u32_e32 v43, vcc, 0, v43, vcc
	v_add_co_u32_e32 v44, vcc, v44, v19
	v_sub_u32_e32 v0, v0, v20
	v_addc_co_u32_e32 v45, vcc, 0, v45, vcc
	v_cmp_gt_i32_e32 vcc, 1, v0
	s_or_b64 s[42:43], vcc, s[42:43]
	s_waitcnt vmcnt(0) lgkmcnt(0)
	flat_store_byte v[7:8], v9 glc slc
	flat_store_byte v[7:8], v10 offset:64 glc slc
	flat_store_byte v[7:8], v36 offset:128 glc slc
	;; [unrolled: 1-line block ×7, first 2 shown]
	s_andn2_b64 exec, exec, s[42:43]
	s_cbranch_execnz .LBB4_205
; %bb.206:                              ;   in Loop: Header=BB4_78 Depth=2
	s_or_b64 exec, exec, s[42:43]
	v_ashrrev_i32_e32 v39, 31, v60
	v_mov_b32_e32 v10, 1
	v_mov_b32_e32 v52, 0xd0
	;; [unrolled: 1-line block ×3, first 2 shown]
.LBB4_207:                              ;   in Loop: Header=BB4_78 Depth=2
	s_or_b64 exec, exec, s[40:41]
	v_lshlrev_b32_e32 v5, 9, v23
	v_cmp_ne_u32_e32 vcc, v3, v5
	s_and_b64 exec, exec, vcc
	s_cbranch_execz .LBB4_211
; %bb.208:                              ;   in Loop: Header=BB4_78 Depth=2
	v_ashrrev_i32_e32 v7, 31, v4
	v_lshrrev_b32_e32 v7, 26, v7
	v_add_u32_e32 v7, v4, v7
	v_and_b32_e32 v7, 0xffffffc0, v7
	v_sub_u32_e32 v4, v4, v7
	v_lshlrev_b32_e32 v0, 6, v0
	v_sub_u32_e32 v0, v4, v0
	v_add_u32_e32 v4, v5, v0
	v_sub_u32_e32 v0, v3, v4
	v_cmp_lt_i32_e32 vcc, 0, v0
	s_and_b64 exec, exec, vcc
	s_cbranch_execz .LBB4_211
; %bb.209:                              ;   in Loop: Header=BB4_78 Depth=2
	v_add_u32_e32 v4, v4, v2
	s_trap 2
	ds_read_b64 v[2:3], v0
	v_ashrrev_i32_e32 v5, 31, v4
	s_mov_b64 s[40:41], 0
.LBB4_210:                              ;   Parent Loop BB4_73 Depth=1
                                        ;     Parent Loop BB4_78 Depth=2
                                        ; =>    This Inner Loop Header: Depth=3
	s_waitcnt lgkmcnt(0)
	v_add_co_u32_e32 v7, vcc, v2, v4
	v_addc_co_u32_e32 v8, vcc, v3, v5, vcc
	flat_load_ubyte v9, v[7:8] glc slc
	v_add_co_u32_e32 v4, vcc, v4, v11
	v_sub_u32_e32 v0, v0, v16
	v_addc_co_u32_e32 v5, vcc, v5, v6, vcc
	v_cmp_gt_i32_e32 vcc, 1, v0
	s_or_b64 s[40:41], vcc, s[40:41]
	s_waitcnt vmcnt(0) lgkmcnt(0)
	flat_store_byte v[7:8], v9 glc slc
	s_andn2_b64 exec, exec, s[40:41]
	s_cbranch_execnz .LBB4_210
.LBB4_211:                              ;   in Loop: Header=BB4_78 Depth=2
	s_or_b64 exec, exec, s[28:29]
.LBB4_212:                              ;   in Loop: Header=BB4_78 Depth=2
	v_cmp_lt_i32_e64 s[28:29], 0, v34
	s_and_saveexec_b64 s[40:41], s[12:13]
	s_cbranch_execz .LBB4_150
.LBB4_213:                              ;   in Loop: Header=BB4_78 Depth=2
	s_and_saveexec_b64 s[42:43], s[58:59]
	s_xor_b64 s[42:43], exec, s[42:43]
	s_cbranch_execz .LBB4_228
; %bb.214:                              ;   in Loop: Header=BB4_78 Depth=2
	s_and_saveexec_b64 s[90:91], s[6:7]
	s_cbranch_execz .LBB4_227
; %bb.215:                              ;   in Loop: Header=BB4_78 Depth=2
	s_mov_b64 s[94:95], exec
	v_mbcnt_lo_u32_b32 v0, s94, 0
	v_mbcnt_hi_u32_b32 v0, s95, v0
	v_cmp_eq_u32_e32 vcc, 0, v0
	s_waitcnt vmcnt(0) lgkmcnt(0)
	buffer_wbinvl1_vol
	s_and_saveexec_b64 s[92:93], vcc
	s_cbranch_execz .LBB4_217
; %bb.216:                              ;   in Loop: Header=BB4_78 Depth=2
	s_bcnt1_i32_b64 s94, s[94:95]
	v_mov_b32_e32 v34, s94
	ds_add_u64 v0, v[34:35]
	s_trap 2
.LBB4_217:                              ;   in Loop: Header=BB4_78 Depth=2
	s_or_b64 exec, exec, s[92:93]
	s_trap 2
	ds_read_b64 v[2:3], v0
	s_waitcnt lgkmcnt(0)
	v_add_co_u32_e32 v14, vcc, v14, v20
	v_addc_co_u32_e32 v15, vcc, 0, v15, vcc
	v_cmp_lt_u64_e32 vcc, v[2:3], v[14:15]
	s_and_saveexec_b64 s[92:93], vcc
	s_cbranch_execz .LBB4_226
; %bb.218:                              ;   in Loop: Header=BB4_78 Depth=2
	s_mov_b32 s48, 0
	s_mov_b64 s[94:95], 0
                                        ; implicit-def: $sgpr30_sgpr31
                                        ; implicit-def: $sgpr34_sgpr35
	s_branch .LBB4_220
.LBB4_219:                              ;   in Loop: Header=BB4_220 Depth=3
	s_or_b64 exec, exec, s[38:39]
	s_and_b64 vcc, exec, vcc
	s_or_b64 s[94:95], vcc, s[94:95]
	s_andn2_b64 vcc, s[30:31], exec
	s_and_b64 s[30:31], s[34:35], exec
	s_or_b64 s[30:31], vcc, s[30:31]
	s_andn2_b64 exec, exec, s[94:95]
	s_cbranch_execz .LBB4_224
.LBB4_220:                              ;   Parent Loop BB4_73 Depth=1
                                        ;     Parent Loop BB4_78 Depth=2
                                        ; =>    This Inner Loop Header: Depth=3
	s_add_i32 s48, s48, 1
	s_cmpk_lg_i32 s48, 0x2710
	s_cselect_b64 s[36:37], -1, 0
	s_and_b64 vcc, exec, s[36:37]
	s_cbranch_vccz .LBB4_222
; %bb.221:                              ;   in Loop: Header=BB4_220 Depth=3
	s_mov_b64 vcc, -1
	s_or_b64 s[34:35], s[34:35], exec
	s_and_saveexec_b64 s[38:39], s[36:37]
	s_cbranch_execz .LBB4_219
	s_branch .LBB4_223
.LBB4_222:                              ;   in Loop: Header=BB4_220 Depth=3
	s_trap 2
	ds_read_b64 v[2:3], v0
	s_andn2_b64 s[36:37], s[36:37], exec
	s_mov_b32 s48, 0
	s_waitcnt lgkmcnt(0)
	flat_load_dword v0, v[2:3] glc
	s_waitcnt vmcnt(0) lgkmcnt(0)
	buffer_wbinvl1_vol
	v_cmp_eq_u32_e32 vcc, 0, v0
	s_and_b64 vcc, vcc, exec
	s_or_b64 s[36:37], s[36:37], vcc
	s_mov_b64 vcc, -1
	s_or_b64 s[34:35], s[34:35], exec
	s_and_saveexec_b64 s[38:39], s[36:37]
	s_cbranch_execz .LBB4_219
.LBB4_223:                              ;   in Loop: Header=BB4_220 Depth=3
	s_sleep 1
	s_trap 2
	ds_read_b64 v[2:3], v0
	s_waitcnt lgkmcnt(0)
	s_andn2_b64 s[34:35], s[34:35], exec
	v_cmp_ge_u64_e32 vcc, v[2:3], v[14:15]
	s_orn2_b64 vcc, vcc, exec
	s_branch .LBB4_219
.LBB4_224:                              ;   in Loop: Header=BB4_78 Depth=2
	s_or_b64 exec, exec, s[94:95]
	s_and_saveexec_b64 s[94:95], s[30:31]
	s_xor_b64 s[94:95], exec, s[94:95]
	s_cbranch_execz .LBB4_226
; %bb.225:                              ;   in Loop: Header=BB4_78 Depth=2
	ds_write_b32 v0, v10
	s_trap 2
.LBB4_226:                              ;   in Loop: Header=BB4_78 Depth=2
	s_or_b64 exec, exec, s[92:93]
	;;#ASMSTART
	s_wakeup
	;;#ASMEND
.LBB4_227:                              ;   in Loop: Header=BB4_78 Depth=2
	s_or_b64 exec, exec, s[90:91]
.LBB4_228:                              ;   in Loop: Header=BB4_78 Depth=2
	s_andn2_saveexec_b64 s[42:43], s[42:43]
	s_cbranch_execz .LBB4_230
; %bb.229:                              ;   in Loop: Header=BB4_78 Depth=2
	s_waitcnt vmcnt(0) lgkmcnt(0)
	buffer_wbinvl1_vol
	s_barrier
.LBB4_230:                              ;   in Loop: Header=BB4_78 Depth=2
	s_or_b64 exec, exec, s[42:43]
	s_or_b64 exec, exec, s[40:41]
                                        ; implicit-def: $vgpr0
	s_and_saveexec_b64 s[40:41], s[18:19]
	s_xor_b64 s[40:41], exec, s[40:41]
	s_cbranch_execnz .LBB4_151
.LBB4_231:                              ;   in Loop: Header=BB4_78 Depth=2
	s_andn2_saveexec_b64 s[28:29], s[40:41]
	s_cbranch_execz .LBB4_154
.LBB4_232:                              ;   in Loop: Header=BB4_78 Depth=2
	s_and_saveexec_b64 s[40:41], s[58:59]
	s_xor_b64 s[40:41], exec, s[40:41]
	s_cbranch_execz .LBB4_247
; %bb.233:                              ;   in Loop: Header=BB4_78 Depth=2
	s_and_saveexec_b64 s[42:43], s[6:7]
	s_cbranch_execz .LBB4_246
; %bb.234:                              ;   in Loop: Header=BB4_78 Depth=2
	s_mov_b64 s[92:93], exec
	v_mbcnt_lo_u32_b32 v0, s92, 0
	v_mbcnt_hi_u32_b32 v0, s93, v0
	v_cmp_eq_u32_e32 vcc, 0, v0
	;;#ASMSTART
	s_waitcnt lgkmcnt(0) vmcnt(0)
	;;#ASMEND
	s_and_saveexec_b64 s[90:91], vcc
	s_cbranch_execz .LBB4_236
; %bb.235:                              ;   in Loop: Header=BB4_78 Depth=2
	s_bcnt1_i32_b64 s92, s[92:93]
	v_mov_b32_e32 v34, s92
	s_waitcnt lgkmcnt(0)
	ds_add_u64 v0, v[34:35]
	s_trap 2
.LBB4_236:                              ;   in Loop: Header=BB4_78 Depth=2
	s_or_b64 exec, exec, s[90:91]
	s_trap 2
	ds_read_b64 v[2:3], v0
	s_waitcnt lgkmcnt(0)
	v_add_co_u32_e32 v14, vcc, v14, v20
	v_addc_co_u32_e32 v15, vcc, 0, v15, vcc
	v_cmp_lt_u64_e32 vcc, v[2:3], v[14:15]
	s_and_saveexec_b64 s[90:91], vcc
	s_cbranch_execz .LBB4_245
; %bb.237:                              ;   in Loop: Header=BB4_78 Depth=2
	s_mov_b32 s38, 0
	s_mov_b64 s[92:93], 0
                                        ; implicit-def: $sgpr94_sgpr95
                                        ; implicit-def: $sgpr30_sgpr31
	s_branch .LBB4_239
.LBB4_238:                              ;   in Loop: Header=BB4_239 Depth=3
	s_or_b64 exec, exec, s[36:37]
	s_and_b64 vcc, exec, vcc
	s_or_b64 s[92:93], vcc, s[92:93]
	s_andn2_b64 s[94:95], s[94:95], exec
	s_and_b64 vcc, s[30:31], exec
	s_or_b64 s[94:95], s[94:95], vcc
	s_andn2_b64 exec, exec, s[92:93]
	s_cbranch_execz .LBB4_243
.LBB4_239:                              ;   Parent Loop BB4_73 Depth=1
                                        ;     Parent Loop BB4_78 Depth=2
                                        ; =>    This Inner Loop Header: Depth=3
	s_add_i32 s38, s38, 1
	s_cmpk_lg_i32 s38, 0x2710
	s_cselect_b64 s[34:35], -1, 0
	s_and_b64 vcc, exec, s[34:35]
	s_cbranch_vccz .LBB4_241
; %bb.240:                              ;   in Loop: Header=BB4_239 Depth=3
	s_mov_b64 vcc, -1
	s_or_b64 s[30:31], s[30:31], exec
	s_and_saveexec_b64 s[36:37], s[34:35]
	s_cbranch_execz .LBB4_238
	s_branch .LBB4_242
.LBB4_241:                              ;   in Loop: Header=BB4_239 Depth=3
	s_trap 2
	ds_read_b64 v[2:3], v0
	s_andn2_b64 s[34:35], s[34:35], exec
	s_mov_b32 s38, 0
	s_waitcnt vmcnt(0) lgkmcnt(0)
	flat_load_dword v0, v[2:3] glc
	s_waitcnt vmcnt(0) lgkmcnt(0)
	buffer_wbinvl1_vol
	v_cmp_eq_u32_e32 vcc, 0, v0
	s_and_b64 vcc, vcc, exec
	s_or_b64 s[34:35], s[34:35], vcc
	s_mov_b64 vcc, -1
	s_or_b64 s[30:31], s[30:31], exec
	s_and_saveexec_b64 s[36:37], s[34:35]
	s_cbranch_execz .LBB4_238
.LBB4_242:                              ;   in Loop: Header=BB4_239 Depth=3
	s_sleep 1
	s_trap 2
	ds_read_b64 v[2:3], v0
	s_waitcnt lgkmcnt(0)
	s_andn2_b64 s[30:31], s[30:31], exec
	v_cmp_ge_u64_e32 vcc, v[2:3], v[14:15]
	s_orn2_b64 vcc, vcc, exec
	s_branch .LBB4_238
.LBB4_243:                              ;   in Loop: Header=BB4_78 Depth=2
	s_or_b64 exec, exec, s[92:93]
	s_and_saveexec_b64 s[92:93], s[94:95]
	s_xor_b64 s[92:93], exec, s[92:93]
	s_cbranch_execz .LBB4_245
; %bb.244:                              ;   in Loop: Header=BB4_78 Depth=2
	ds_write_b32 v0, v10
	s_trap 2
.LBB4_245:                              ;   in Loop: Header=BB4_78 Depth=2
	s_or_b64 exec, exec, s[90:91]
	;;#ASMSTART
	s_wakeup
	;;#ASMEND
.LBB4_246:                              ;   in Loop: Header=BB4_78 Depth=2
	s_or_b64 exec, exec, s[42:43]
.LBB4_247:                              ;   in Loop: Header=BB4_78 Depth=2
	s_andn2_saveexec_b64 s[40:41], s[40:41]
	s_cbranch_execz .LBB4_249
; %bb.248:                              ;   in Loop: Header=BB4_78 Depth=2
	;;#ASMSTART
	s_waitcnt lgkmcnt(0) vmcnt(0)
	;;#ASMEND
	s_waitcnt vmcnt(0) lgkmcnt(0)
	s_barrier
.LBB4_249:                              ;   in Loop: Header=BB4_78 Depth=2
	s_or_b64 exec, exec, s[40:41]
	v_and_b32_e32 v0, 16, v57
	s_or_b64 exec, exec, s[28:29]
	v_cmp_ne_u32_e32 vcc, 0, v0
	s_and_saveexec_b64 s[28:29], vcc
	s_cbranch_execz .LBB4_77
.LBB4_250:                              ;   in Loop: Header=BB4_78 Depth=2
	s_and_saveexec_b64 s[40:41], s[22:23]
	s_cbranch_execz .LBB4_76
; %bb.251:                              ;   in Loop: Header=BB4_78 Depth=2
	flat_store_dword v[28:29], v10
	s_branch .LBB4_76
.LBB4_252:                              ;   in Loop: Header=BB4_73 Depth=1
	s_andn2_saveexec_b64 s[40:41], s[74:75]
	s_cbranch_execz .LBB4_540
.LBB4_253:                              ;   in Loop: Header=BB4_73 Depth=1
	v_mov_b32_e32 v0, 0
	s_waitcnt vmcnt(0)
	v_mov_b32_e32 v2, v41
	v_mov_b32_e32 v17, 0
	s_and_saveexec_b64 s[42:43], s[26:27]
	s_cbranch_execz .LBB4_467
; %bb.254:                              ;   in Loop: Header=BB4_73 Depth=1
	s_mov_b32 s65, 1
	s_mov_b64 s[76:77], -1
	v_mov_b32_e32 v17, 0
	s_mov_b64 s[74:75], 0
	v_mov_b32_e32 v2, v41
	s_branch .LBB4_257
.LBB4_255:                              ;   in Loop: Header=BB4_257 Depth=2
	s_or_b64 exec, exec, s[78:79]
	v_add_co_u32_e32 v50, vcc, 2, v50
	v_addc_co_u32_e32 v51, vcc, 0, v51, vcc
	flat_store_dwordx2 v[24:25], v[50:51]
.LBB4_256:                              ;   in Loop: Header=BB4_257 Depth=2
	s_or_b64 exec, exec, s[28:29]
	v_add_u32_e32 v17, v2, v17
	v_cmp_ge_i32_e32 vcc, v17, v22
	s_xor_b64 s[28:29], s[76:77], -1
	s_or_b64 s[28:29], s[28:29], vcc
	s_and_b64 s[28:29], exec, s[28:29]
	s_or_b64 s[74:75], s[28:29], s[74:75]
	s_mov_b64 s[76:77], 0
	v_mov_b32_e32 v0, s65
	s_mov_b32 s65, 2
	s_andn2_b64 exec, exec, s[74:75]
	s_cbranch_execz .LBB4_466
.LBB4_257:                              ;   Parent Loop BB4_73 Depth=1
                                        ; =>  This Loop Header: Depth=2
                                        ;       Child Loop BB4_265 Depth 3
                                        ;       Child Loop BB4_289 Depth 3
                                        ;       Child Loop BB4_308 Depth 3
                                        ;       Child Loop BB4_335 Depth 3
                                        ;       Child Loop BB4_340 Depth 3
                                        ;       Child Loop BB4_348 Depth 3
                                        ;       Child Loop BB4_353 Depth 3
                                        ;       Child Loop BB4_362 Depth 3
                                        ;       Child Loop BB4_381 Depth 3
	s_and_saveexec_b64 s[28:29], s[4:5]
	s_cbranch_execz .LBB4_259
; %bb.258:                              ;   in Loop: Header=BB4_257 Depth=2
	s_trap 2
	ds_read_b64 v[3:4], v0
	buffer_load_dword v7, off, s[0:3], s33 offset:76 ; 4-byte Folded Reload
	buffer_load_dword v8, off, s[0:3], s33 offset:80 ; 4-byte Folded Reload
	v_ashrrev_i32_e32 v5, 31, v17
	v_mov_b32_e32 v34, v35
	s_waitcnt vmcnt(0) lgkmcnt(0)
	v_add_co_u32_e32 v0, vcc, v3, v7
	v_addc_co_u32_e32 v4, vcc, v4, v8, vcc
	v_add_co_u32_e32 v3, vcc, v0, v17
	v_addc_co_u32_e32 v4, vcc, v4, v5, vcc
	ds_write_b64 v0, v[3:4]
	ds_write_b64 v0, v[34:35]
.LBB4_259:                              ;   in Loop: Header=BB4_257 Depth=2
	s_or_b64 exec, exec, s[28:29]
	v_sub_u32_e32 v0, v22, v17
	v_min_i32_e32 v2, v2, v0
	v_and_b32_e32 v0, 8, v57
	v_cmp_ne_u32_e32 vcc, 0, v0
	s_and_saveexec_b64 s[78:79], vcc
	s_cbranch_execz .LBB4_281
; %bb.260:                              ;   in Loop: Header=BB4_257 Depth=2
	s_waitcnt vmcnt(0) lgkmcnt(0)
	v_add_co_u32_e32 v7, vcc, 8, v32
	v_addc_co_u32_e32 v8, vcc, 0, v33, vcc
	v_add_co_u32_e32 v4, vcc, 2, v50
	v_addc_co_u32_e32 v5, vcc, 0, v51, vcc
	v_cmp_lt_u64_e32 vcc, v[7:8], v[4:5]
	s_and_saveexec_b64 s[88:89], vcc
	s_cbranch_execz .LBB4_272
; %bb.261:                              ;   in Loop: Header=BB4_257 Depth=2
	v_and_b32_e32 v0, 64, v57
	s_mov_b32 s66, 0
	v_cmp_eq_u32_e32 vcc, 0, v0
	s_mov_b64 s[90:91], 0
                                        ; implicit-def: $sgpr92_sgpr93
                                        ; implicit-def: $sgpr94_sgpr95
                                        ; implicit-def: $sgpr30_sgpr31
	s_branch .LBB4_265
.LBB4_262:                              ;   in Loop: Header=BB4_265 Depth=3
	s_waitcnt vmcnt(0) lgkmcnt(0)
	v_add_co_u32_e64 v7, s[28:29], 8, v32
	v_addc_co_u32_e64 v8, s[28:29], 0, v33, s[28:29]
	v_cmp_ge_u64_e64 s[28:29], v[7:8], v[4:5]
	s_or_b64 s[38:39], s[38:39], exec
	s_orn2_b64 s[36:37], s[28:29], exec
.LBB4_263:                              ;   in Loop: Header=BB4_265 Depth=3
	s_or_b64 exec, exec, s[50:51]
	s_andn2_b64 s[28:29], s[30:31], exec
	s_and_b64 s[30:31], s[38:39], exec
	s_or_b64 s[30:31], s[28:29], s[30:31]
	s_andn2_b64 s[28:29], s[94:95], exec
	s_and_b64 s[94:95], s[36:37], exec
	s_or_b64 s[94:95], s[28:29], s[94:95]
.LBB4_264:                              ;   in Loop: Header=BB4_265 Depth=3
	s_or_b64 exec, exec, s[34:35]
	s_and_b64 s[28:29], exec, s[94:95]
	s_or_b64 s[90:91], s[28:29], s[90:91]
	s_andn2_b64 s[28:29], s[92:93], exec
	s_and_b64 s[92:93], s[30:31], exec
	s_or_b64 s[92:93], s[28:29], s[92:93]
	s_andn2_b64 exec, exec, s[90:91]
	s_cbranch_execz .LBB4_269
.LBB4_265:                              ;   Parent Loop BB4_73 Depth=1
                                        ;     Parent Loop BB4_257 Depth=2
                                        ; =>    This Inner Loop Header: Depth=3
	s_sleep 1
	s_waitcnt vmcnt(0) lgkmcnt(0)
	flat_load_dwordx2 v[32:33], v[24:25] glc
	s_or_b64 s[30:31], s[30:31], exec
	s_or_b64 s[94:95], s[94:95], exec
                                        ; implicit-def: $vgpr0
	s_and_saveexec_b64 s[34:35], vcc
	s_cbranch_execz .LBB4_264
; %bb.266:                              ;   in Loop: Header=BB4_265 Depth=3
	s_cmpk_lt_i32 s66, 0x270f
	s_cselect_b64 s[48:49], -1, 0
	s_cmpk_gt_i32 s66, 0x270e
	s_mov_b64 s[36:37], -1
	s_cbranch_scc0 .LBB4_268
; %bb.267:                              ;   in Loop: Header=BB4_265 Depth=3
	s_trap 2
	ds_read_b64 v[7:8], v0
	s_andn2_b64 s[48:49], s[48:49], exec
	s_mov_b32 s66, 0
	s_mov_b64 s[38:39], 0
	s_waitcnt vmcnt(0) lgkmcnt(0)
	flat_load_dword v0, v[7:8] glc
	s_waitcnt vmcnt(0) lgkmcnt(0)
	buffer_wbinvl1_vol
	v_cmp_eq_u32_e64 s[28:29], 0, v0
	s_and_b64 s[28:29], s[28:29], exec
	s_or_b64 s[48:49], s[48:49], s[28:29]
	s_and_saveexec_b64 s[50:51], s[48:49]
	s_cbranch_execz .LBB4_263
	s_branch .LBB4_262
.LBB4_268:                              ;   in Loop: Header=BB4_265 Depth=3
	s_add_i32 s66, s66, 1
	s_mov_b64 s[38:39], -1
                                        ; implicit-def: $vgpr0
	s_and_saveexec_b64 s[50:51], s[48:49]
	s_cbranch_execz .LBB4_263
	s_branch .LBB4_262
.LBB4_269:                              ;   in Loop: Header=BB4_257 Depth=2
	s_or_b64 exec, exec, s[90:91]
	s_xor_b64 s[28:29], s[92:93], -1
	s_and_saveexec_b64 s[90:91], s[28:29]
	s_xor_b64 s[28:29], exec, s[90:91]
	s_cbranch_execz .LBB4_271
; %bb.270:                              ;   in Loop: Header=BB4_257 Depth=2
	v_or_b32_e32 v57, 64, v57
	s_waitcnt lgkmcnt(0)
	ds_write_b32 v0, v0
	s_trap 2
.LBB4_271:                              ;   in Loop: Header=BB4_257 Depth=2
	s_or_b64 exec, exec, s[28:29]
.LBB4_272:                              ;   in Loop: Header=BB4_257 Depth=2
	s_or_b64 exec, exec, s[88:89]
	v_and_b32_e32 v0, 0x100, v57
	v_cmp_ne_u32_e32 vcc, 0, v0
	v_and_b32_e32 v0, 7, v50
	s_mov_b64 s[28:29], -1
	;;#ASMSTART
	s_wakeup
	;;#ASMEND
                                        ; implicit-def: $vgpr50_vgpr51
	s_and_saveexec_b64 s[88:89], vcc
	s_cbranch_execz .LBB4_276
; %bb.273:                              ;   in Loop: Header=BB4_257 Depth=2
	v_mad_u64_u32 v[54:55], s[28:29], v0, 24, v[12:13]
	v_ashrrev_i32_e32 v3, 31, v2
                                        ; implicit-def: $vgpr50_vgpr51
	flat_load_dword v7, v[54:55]
	s_nop 0
	flat_store_dwordx2 v[54:55], v[2:3] offset:8
	s_waitcnt vmcnt(0) lgkmcnt(0)
	v_cmp_ne_u32_e32 vcc, 1, v7
	v_cmp_eq_u32_e64 s[28:29], 1, v7
	s_and_saveexec_b64 s[90:91], s[28:29]
	s_cbranch_execz .LBB4_275
; %bb.274:                              ;   in Loop: Header=BB4_257 Depth=2
	flat_load_dword v50, v[54:55] offset:4 glc
	s_waitcnt vmcnt(0) lgkmcnt(0)
	v_ashrrev_i32_e32 v51, 31, v50
.LBB4_275:                              ;   in Loop: Header=BB4_257 Depth=2
	s_or_b64 exec, exec, s[90:91]
	s_orn2_b64 s[28:29], vcc, exec
.LBB4_276:                              ;   in Loop: Header=BB4_257 Depth=2
	s_or_b64 exec, exec, s[88:89]
	s_and_saveexec_b64 s[88:89], s[28:29]
; %bb.277:                              ;   in Loop: Header=BB4_257 Depth=2
	v_mad_i64_i32 v[50:51], s[28:29], v0, v60, 0
; %bb.278:                              ;   in Loop: Header=BB4_257 Depth=2
	s_or_b64 exec, exec, s[88:89]
	v_add_co_u32_e32 v7, vcc, v26, v50
	v_addc_co_u32_e32 v8, vcc, v27, v51, vcc
	ds_write_b64 v0, v[7:8] offset:784
	v_and_b32_e32 v0, 0x2000, v57
	v_cmp_ne_u32_e32 vcc, 0, v0
	s_and_saveexec_b64 s[28:29], vcc
	s_cbranch_execz .LBB4_280
; %bb.279:                              ;   in Loop: Header=BB4_257 Depth=2
	ds_read_b64 v[7:8], v0 offset:872
	s_waitcnt lgkmcnt(0)
	v_add_co_u32_e32 v7, vcc, 1, v7
	v_addc_co_u32_e32 v8, vcc, 0, v8, vcc
	ds_write_b64 v0, v[7:8] offset:872
.LBB4_280:                              ;   in Loop: Header=BB4_257 Depth=2
	s_or_b64 exec, exec, s[28:29]
	v_mov_b32_e32 v51, v5
	v_mov_b32_e32 v50, v4
.LBB4_281:                              ;   in Loop: Header=BB4_257 Depth=2
	s_or_b64 exec, exec, s[78:79]
	s_and_saveexec_b64 s[28:29], s[12:13]
	s_cbranch_execz .LBB4_300
; %bb.282:                              ;   in Loop: Header=BB4_257 Depth=2
	s_and_saveexec_b64 s[78:79], s[58:59]
	s_xor_b64 s[78:79], exec, s[78:79]
	s_cbranch_execz .LBB4_297
; %bb.283:                              ;   in Loop: Header=BB4_257 Depth=2
	s_and_saveexec_b64 s[88:89], s[6:7]
	s_cbranch_execz .LBB4_296
; %bb.284:                              ;   in Loop: Header=BB4_257 Depth=2
	s_mov_b64 s[92:93], exec
	v_mbcnt_lo_u32_b32 v0, s92, 0
	v_mbcnt_hi_u32_b32 v0, s93, v0
	v_cmp_eq_u32_e32 vcc, 0, v0
	s_waitcnt vmcnt(0) lgkmcnt(0)
	buffer_wbinvl1_vol
	s_and_saveexec_b64 s[90:91], vcc
	s_cbranch_execz .LBB4_286
; %bb.285:                              ;   in Loop: Header=BB4_257 Depth=2
	s_bcnt1_i32_b64 s92, s[92:93]
	v_mov_b32_e32 v34, s92
	ds_add_u64 v0, v[34:35]
	s_trap 2
.LBB4_286:                              ;   in Loop: Header=BB4_257 Depth=2
	s_or_b64 exec, exec, s[90:91]
	s_trap 2
	ds_read_b64 v[3:4], v0
	s_waitcnt lgkmcnt(0)
	v_add_co_u32_e32 v14, vcc, v14, v20
	v_addc_co_u32_e32 v15, vcc, 0, v15, vcc
	v_cmp_lt_u64_e32 vcc, v[3:4], v[14:15]
	s_and_saveexec_b64 s[90:91], vcc
	s_cbranch_execz .LBB4_295
; %bb.287:                              ;   in Loop: Header=BB4_257 Depth=2
	s_mov_b32 s38, 0
	s_mov_b64 s[92:93], 0
                                        ; implicit-def: $sgpr94_sgpr95
                                        ; implicit-def: $sgpr30_sgpr31
	s_branch .LBB4_289
.LBB4_288:                              ;   in Loop: Header=BB4_289 Depth=3
	s_or_b64 exec, exec, s[36:37]
	s_and_b64 vcc, exec, vcc
	s_or_b64 s[92:93], vcc, s[92:93]
	s_andn2_b64 s[94:95], s[94:95], exec
	s_and_b64 vcc, s[30:31], exec
	s_or_b64 s[94:95], s[94:95], vcc
	s_andn2_b64 exec, exec, s[92:93]
	s_cbranch_execz .LBB4_293
.LBB4_289:                              ;   Parent Loop BB4_73 Depth=1
                                        ;     Parent Loop BB4_257 Depth=2
                                        ; =>    This Inner Loop Header: Depth=3
	s_add_i32 s38, s38, 1
	s_cmpk_lg_i32 s38, 0x2710
	s_cselect_b64 s[34:35], -1, 0
	s_and_b64 vcc, exec, s[34:35]
	s_cbranch_vccz .LBB4_291
; %bb.290:                              ;   in Loop: Header=BB4_289 Depth=3
	s_mov_b64 vcc, -1
	s_or_b64 s[30:31], s[30:31], exec
	s_and_saveexec_b64 s[36:37], s[34:35]
	s_cbranch_execz .LBB4_288
	s_branch .LBB4_292
.LBB4_291:                              ;   in Loop: Header=BB4_289 Depth=3
	s_trap 2
	ds_read_b64 v[3:4], v0
	s_andn2_b64 s[34:35], s[34:35], exec
	s_mov_b32 s38, 0
	s_waitcnt lgkmcnt(0)
	flat_load_dword v0, v[3:4] glc
	s_waitcnt vmcnt(0) lgkmcnt(0)
	buffer_wbinvl1_vol
	v_cmp_eq_u32_e32 vcc, 0, v0
	s_and_b64 vcc, vcc, exec
	s_or_b64 s[34:35], s[34:35], vcc
	s_mov_b64 vcc, -1
	s_or_b64 s[30:31], s[30:31], exec
	s_and_saveexec_b64 s[36:37], s[34:35]
	s_cbranch_execz .LBB4_288
.LBB4_292:                              ;   in Loop: Header=BB4_289 Depth=3
	s_sleep 1
	s_trap 2
	ds_read_b64 v[3:4], v0
	s_waitcnt lgkmcnt(0)
	s_andn2_b64 s[30:31], s[30:31], exec
	v_cmp_ge_u64_e32 vcc, v[3:4], v[14:15]
	s_orn2_b64 vcc, vcc, exec
	s_branch .LBB4_288
.LBB4_293:                              ;   in Loop: Header=BB4_257 Depth=2
	s_or_b64 exec, exec, s[92:93]
	s_and_saveexec_b64 s[92:93], s[94:95]
	s_xor_b64 s[92:93], exec, s[92:93]
	s_cbranch_execz .LBB4_295
; %bb.294:                              ;   in Loop: Header=BB4_257 Depth=2
	ds_write_b32 v0, v10
	s_trap 2
.LBB4_295:                              ;   in Loop: Header=BB4_257 Depth=2
	s_or_b64 exec, exec, s[90:91]
	;;#ASMSTART
	s_wakeup
	;;#ASMEND
.LBB4_296:                              ;   in Loop: Header=BB4_257 Depth=2
	s_or_b64 exec, exec, s[88:89]
.LBB4_297:                              ;   in Loop: Header=BB4_257 Depth=2
	s_andn2_saveexec_b64 s[78:79], s[78:79]
	s_cbranch_execz .LBB4_299
; %bb.298:                              ;   in Loop: Header=BB4_257 Depth=2
	s_waitcnt vmcnt(0) lgkmcnt(0)
	buffer_wbinvl1_vol
	s_barrier
.LBB4_299:                              ;   in Loop: Header=BB4_257 Depth=2
	s_or_b64 exec, exec, s[78:79]
.LBB4_300:                              ;   in Loop: Header=BB4_257 Depth=2
	s_or_b64 exec, exec, s[28:29]
	s_trap 2
	ds_read_b32 v5, v0
	v_and_b32_e32 v0, 0x4000, v57
	v_cmp_ne_u32_e32 vcc, 0, v0
	s_xor_b64 s[28:29], s[10:11], -1
	s_and_b64 s[78:79], s[28:29], vcc
	s_and_saveexec_b64 s[28:29], s[78:79]
	s_cbranch_execz .LBB4_319
; %bb.301:                              ;   in Loop: Header=BB4_257 Depth=2
	s_and_saveexec_b64 s[78:79], s[58:59]
	s_xor_b64 s[78:79], exec, s[78:79]
	s_cbranch_execz .LBB4_316
; %bb.302:                              ;   in Loop: Header=BB4_257 Depth=2
	s_and_saveexec_b64 s[88:89], s[6:7]
	s_cbranch_execz .LBB4_315
; %bb.303:                              ;   in Loop: Header=BB4_257 Depth=2
	s_mov_b64 s[92:93], exec
	v_mbcnt_lo_u32_b32 v0, s92, 0
	v_mbcnt_hi_u32_b32 v0, s93, v0
	v_cmp_eq_u32_e32 vcc, 0, v0
	s_waitcnt vmcnt(0) lgkmcnt(0)
	buffer_wbinvl1_vol
	s_and_saveexec_b64 s[90:91], vcc
	s_cbranch_execz .LBB4_305
; %bb.304:                              ;   in Loop: Header=BB4_257 Depth=2
	s_bcnt1_i32_b64 s92, s[92:93]
	v_mov_b32_e32 v34, s92
	ds_add_u64 v0, v[34:35]
	s_trap 2
.LBB4_305:                              ;   in Loop: Header=BB4_257 Depth=2
	s_or_b64 exec, exec, s[90:91]
	s_trap 2
	ds_read_b64 v[3:4], v0
	s_waitcnt lgkmcnt(0)
	v_add_co_u32_e32 v14, vcc, v14, v20
	v_addc_co_u32_e32 v15, vcc, 0, v15, vcc
	v_cmp_lt_u64_e32 vcc, v[3:4], v[14:15]
	s_and_saveexec_b64 s[90:91], vcc
	s_cbranch_execz .LBB4_314
; %bb.306:                              ;   in Loop: Header=BB4_257 Depth=2
	s_mov_b32 s38, 0
	s_mov_b64 s[92:93], 0
                                        ; implicit-def: $sgpr94_sgpr95
                                        ; implicit-def: $sgpr30_sgpr31
	s_branch .LBB4_308
.LBB4_307:                              ;   in Loop: Header=BB4_308 Depth=3
	s_or_b64 exec, exec, s[36:37]
	s_and_b64 vcc, exec, vcc
	s_or_b64 s[92:93], vcc, s[92:93]
	s_andn2_b64 s[94:95], s[94:95], exec
	s_and_b64 vcc, s[30:31], exec
	s_or_b64 s[94:95], s[94:95], vcc
	s_andn2_b64 exec, exec, s[92:93]
	s_cbranch_execz .LBB4_312
.LBB4_308:                              ;   Parent Loop BB4_73 Depth=1
                                        ;     Parent Loop BB4_257 Depth=2
                                        ; =>    This Inner Loop Header: Depth=3
	s_add_i32 s38, s38, 1
	s_cmpk_lg_i32 s38, 0x2710
	s_cselect_b64 s[34:35], -1, 0
	s_and_b64 vcc, exec, s[34:35]
	s_cbranch_vccz .LBB4_310
; %bb.309:                              ;   in Loop: Header=BB4_308 Depth=3
	s_mov_b64 vcc, -1
	s_or_b64 s[30:31], s[30:31], exec
	s_and_saveexec_b64 s[36:37], s[34:35]
	s_cbranch_execz .LBB4_307
	s_branch .LBB4_311
.LBB4_310:                              ;   in Loop: Header=BB4_308 Depth=3
	s_trap 2
	ds_read_b64 v[3:4], v0
	s_andn2_b64 s[34:35], s[34:35], exec
	s_mov_b32 s38, 0
	s_waitcnt lgkmcnt(0)
	flat_load_dword v0, v[3:4] glc
	s_waitcnt vmcnt(0) lgkmcnt(0)
	buffer_wbinvl1_vol
	v_cmp_eq_u32_e32 vcc, 0, v0
	s_and_b64 vcc, vcc, exec
	s_or_b64 s[34:35], s[34:35], vcc
	s_mov_b64 vcc, -1
	s_or_b64 s[30:31], s[30:31], exec
	s_and_saveexec_b64 s[36:37], s[34:35]
	s_cbranch_execz .LBB4_307
.LBB4_311:                              ;   in Loop: Header=BB4_308 Depth=3
	s_sleep 1
	s_trap 2
	ds_read_b64 v[3:4], v0
	s_waitcnt lgkmcnt(0)
	s_andn2_b64 s[30:31], s[30:31], exec
	v_cmp_ge_u64_e32 vcc, v[3:4], v[14:15]
	s_orn2_b64 vcc, vcc, exec
	s_branch .LBB4_307
.LBB4_312:                              ;   in Loop: Header=BB4_257 Depth=2
	s_or_b64 exec, exec, s[92:93]
	s_and_saveexec_b64 s[92:93], s[94:95]
	s_xor_b64 s[92:93], exec, s[92:93]
	s_cbranch_execz .LBB4_314
; %bb.313:                              ;   in Loop: Header=BB4_257 Depth=2
	ds_write_b32 v0, v10
	s_trap 2
.LBB4_314:                              ;   in Loop: Header=BB4_257 Depth=2
	s_or_b64 exec, exec, s[90:91]
	;;#ASMSTART
	s_wakeup
	;;#ASMEND
.LBB4_315:                              ;   in Loop: Header=BB4_257 Depth=2
	s_or_b64 exec, exec, s[88:89]
.LBB4_316:                              ;   in Loop: Header=BB4_257 Depth=2
	s_andn2_saveexec_b64 s[78:79], s[78:79]
	s_cbranch_execz .LBB4_318
; %bb.317:                              ;   in Loop: Header=BB4_257 Depth=2
	s_waitcnt vmcnt(0) lgkmcnt(0)
	buffer_wbinvl1_vol
	s_barrier
.LBB4_318:                              ;   in Loop: Header=BB4_257 Depth=2
	s_or_b64 exec, exec, s[78:79]
.LBB4_319:                              ;   in Loop: Header=BB4_257 Depth=2
	s_or_b64 exec, exec, s[28:29]
	s_trap 2
	ds_read_b64 v[3:4], v0
	s_waitcnt lgkmcnt(0)
	v_cmp_eq_u64_e32 vcc, 0, v[3:4]
	s_cbranch_vccnz .LBB4_327
; %bb.320:                              ;   in Loop: Header=BB4_257 Depth=2
	s_trap 2
	ds_read_b64 v[54:55], v0
	s_waitcnt lgkmcnt(0)
	v_cmp_eq_u64_e32 vcc, 0, v[54:55]
	s_cbranch_vccnz .LBB4_327
; %bb.321:                              ;   in Loop: Header=BB4_257 Depth=2
	s_mov_b64 s[28:29], -1
	s_and_saveexec_b64 s[78:79], s[14:15]
	s_cbranch_execz .LBB4_323
; %bb.322:                              ;   in Loop: Header=BB4_257 Depth=2
	ds_read_b32 v0, v0 offset:720
	s_waitcnt lgkmcnt(0)
	v_and_b32_e32 v0, 15, v0
	v_cmp_eq_u32_e32 vcc, 0, v0
	s_orn2_b64 s[28:29], vcc, exec
.LBB4_323:                              ;   in Loop: Header=BB4_257 Depth=2
	s_or_b64 exec, exec, s[78:79]
	s_and_saveexec_b64 s[78:79], s[24:25]
	s_cbranch_execz .LBB4_325
; %bb.324:                              ;   in Loop: Header=BB4_257 Depth=2
	ds_read_b32 v0, v0 offset:784
	s_waitcnt lgkmcnt(0)
	v_and_b32_e32 v0, 15, v0
	v_cmp_eq_u32_e32 vcc, 0, v0
	s_and_b64 s[88:89], s[28:29], vcc
	s_andn2_b64 s[28:29], s[28:29], exec
	s_and_b64 s[88:89], s[88:89], exec
	s_or_b64 s[28:29], s[28:29], s[88:89]
.LBB4_325:                              ;   in Loop: Header=BB4_257 Depth=2
	s_or_b64 exec, exec, s[78:79]
	v_cmp_eq_u32_e32 vcc, 0, v5
	s_xor_b64 s[28:29], s[28:29], -1
	v_cndmask_b32_e32 v5, 0, v2, vcc
	v_cndmask_b32_e64 v0, 0, 1, s[28:29]
	s_mov_b64 s[88:89], -1
	v_cmp_ne_u32_e32 vcc, 0, v0
	v_mov_b32_e32 v34, 0
	v_mov_b32_e32 v36, v5
	v_mov_b32_e32 v48, v62
	v_mov_b32_e32 v23, v58
	s_cbranch_vccz .LBB4_333
; %bb.326:                              ;   in Loop: Header=BB4_257 Depth=2
	s_and_saveexec_b64 s[28:29], s[88:89]
	s_cbranch_execnz .LBB4_346
	s_branch .LBB4_354
.LBB4_327:                              ;   in Loop: Header=BB4_257 Depth=2
	s_mov_b64 s[28:29], 0
	s_and_saveexec_b64 s[78:79], s[12:13]
	s_cbranch_execnz .LBB4_355
.LBB4_328:                              ;   in Loop: Header=BB4_257 Depth=2
	s_or_b64 exec, exec, s[78:79]
                                        ; implicit-def: $vgpr0
	s_and_saveexec_b64 s[78:79], s[18:19]
	s_xor_b64 s[78:79], exec, s[78:79]
	s_cbranch_execz .LBB4_373
.LBB4_329:                              ;   in Loop: Header=BB4_257 Depth=2
	v_and_b32_e32 v3, 16, v57
	v_cmp_ne_u32_e32 vcc, 0, v3
	v_and_b32_e32 v0, 16, v57
	s_and_b64 s[88:89], vcc, s[28:29]
	s_and_saveexec_b64 s[28:29], s[88:89]
	s_cbranch_execz .LBB4_331
; %bb.330:                              ;   in Loop: Header=BB4_257 Depth=2
	v_mov_b32_e32 v0, 1
	s_waitcnt vmcnt(0) lgkmcnt(0)
	buffer_wbinvl1_vol
.LBB4_331:                              ;   in Loop: Header=BB4_257 Depth=2
	s_or_b64 exec, exec, s[28:29]
	s_andn2_saveexec_b64 s[28:29], s[78:79]
	s_cbranch_execnz .LBB4_374
.LBB4_332:                              ;   in Loop: Header=BB4_257 Depth=2
	s_or_b64 exec, exec, s[28:29]
	v_cmp_ne_u32_e32 vcc, 0, v0
	s_and_saveexec_b64 s[28:29], vcc
	s_cbranch_execz .LBB4_256
	s_branch .LBB4_392
.LBB4_333:                              ;   in Loop: Header=BB4_257 Depth=2
	v_ashrrev_i32_e32 v0, 31, v5
	v_lshrrev_b32_e32 v0, 21, v0
	v_add_u32_e32 v0, v5, v0
	v_ashrrev_i32_e32 v0, 11, v0
	v_sub_u32_e32 v30, v0, v58
	v_cmp_lt_i32_e32 vcc, 0, v30
	s_and_saveexec_b64 s[28:29], vcc
	s_cbranch_execz .LBB4_337
; %bb.334:                              ;   in Loop: Header=BB4_257 Depth=2
	buffer_load_dword v40, off, s[0:3], s33 offset:88 ; 4-byte Folded Reload
	buffer_load_dword v41, off, s[0:3], s33 offset:92 ; 4-byte Folded Reload
	s_mov_b64 s[78:79], 0
.LBB4_335:                              ;   Parent Loop BB4_73 Depth=1
                                        ;     Parent Loop BB4_257 Depth=2
                                        ; =>    This Inner Loop Header: Depth=3
	s_waitcnt vmcnt(0)
	v_add_co_u32_e32 v7, vcc, v3, v40
	v_addc_co_u32_e32 v8, vcc, v4, v41, vcc
	global_load_dwordx4 v[42:45], v[7:8], off glc slc
	global_load_dwordx4 v[46:49], v[7:8], off offset:1024 glc slc
	v_add_co_u32_e32 v7, vcc, v54, v40
	v_addc_co_u32_e32 v8, vcc, v55, v41, vcc
	v_add_co_u32_e32 v40, vcc, v40, v53
	v_sub_u32_e32 v30, v30, v20
	v_addc_co_u32_e32 v41, vcc, 0, v41, vcc
	v_cmp_gt_i32_e32 vcc, 1, v30
	s_or_b64 s[78:79], vcc, s[78:79]
	s_waitcnt vmcnt(1)
	global_store_dwordx4 v[7:8], v[42:45], off glc slc
	s_waitcnt vmcnt(1)
	global_store_dwordx4 v[7:8], v[46:49], off offset:1024 glc slc
	s_andn2_b64 exec, exec, s[78:79]
	s_cbranch_execnz .LBB4_335
; %bb.336:                              ;   in Loop: Header=BB4_257 Depth=2
	s_or_b64 exec, exec, s[78:79]
	buffer_load_dword v41, off, s[0:3], s33 offset:96 ; 4-byte Folded Reload
.LBB4_337:                              ;   in Loop: Header=BB4_257 Depth=2
	s_or_b64 exec, exec, s[28:29]
	v_lshlrev_b32_e32 v0, 11, v0
	v_cmp_ne_u32_e32 vcc, v5, v0
	s_mov_b64 s[88:89], 0
	v_mov_b32_e32 v34, 0
                                        ; implicit-def: $vgpr36
                                        ; implicit-def: $vgpr48
                                        ; implicit-def: $vgpr23
	s_and_saveexec_b64 s[78:79], vcc
	s_cbranch_execz .LBB4_345
; %bb.338:                              ;   in Loop: Header=BB4_257 Depth=2
	buffer_load_dword v9, off, s[0:3], s33 offset:72 ; 4-byte Folded Reload
	v_lshlrev_b32_e32 v8, 6, v30
	v_sub_u32_e32 v7, v5, v0
	s_waitcnt vmcnt(0)
	v_sub_u32_e32 v8, v9, v8
	v_ashrrev_i32_e32 v9, 31, v8
	v_lshrrev_b32_e32 v9, 26, v9
	v_add_u32_e32 v9, v8, v9
	v_ashrrev_i32_e32 v10, 6, v9
	v_and_b32_e32 v9, 0xffffffc0, v9
	v_sub_u32_e32 v30, v8, v9
	v_lshlrev_b32_e32 v8, 4, v30
	v_lshl_add_u32 v34, v10, 10, v8
	v_ashrrev_i32_e32 v8, 31, v7
	v_lshrrev_b32_e32 v8, 22, v8
	v_add_u32_e32 v8, v7, v8
	v_and_b32_e32 v38, 0xfffffc00, v8
	v_sub_u32_e32 v52, v7, v38
	v_ashrrev_i32_e32 v9, 10, v8
	v_cmp_lt_i32_e32 vcc, 15, v52
	v_sub_u32_e32 v23, v7, v34
	v_addc_co_u32_e64 v7, s[28:29], 0, v9, vcc
	v_sub_u32_e32 v49, v7, v10
	v_cmp_lt_i32_e64 s[28:29], 15, v23
	s_and_saveexec_b64 s[88:89], s[28:29]
	s_cbranch_execz .LBB4_342
; %bb.339:                              ;   in Loop: Header=BB4_257 Depth=2
	v_add_u32_e32 v34, v34, v0
	v_ashrrev_i32_e32 v36, 31, v34
	s_mov_b64 s[90:91], 0
.LBB4_340:                              ;   Parent Loop BB4_73 Depth=1
                                        ;     Parent Loop BB4_257 Depth=2
                                        ; =>    This Inner Loop Header: Depth=3
	v_add_co_u32_e64 v7, s[28:29], v3, v34
	v_addc_co_u32_e64 v8, s[28:29], v4, v36, s[28:29]
	global_load_dwordx4 v[40:43], v[7:8], off glc slc
	v_add_co_u32_e64 v7, s[28:29], v54, v34
	v_addc_co_u32_e64 v8, s[28:29], v55, v36, s[28:29]
	v_add_co_u32_e64 v34, s[28:29], v34, v1
	v_sub_u32_e32 v23, v23, v37
	v_addc_co_u32_e64 v36, s[28:29], v36, v18, s[28:29]
	v_cmp_gt_i32_e64 s[28:29], 16, v23
	v_sub_u32_e32 v49, v49, v20
	s_or_b64 s[90:91], s[28:29], s[90:91]
	s_waitcnt vmcnt(0)
	global_store_dwordx4 v[7:8], v[40:43], off glc slc
	s_andn2_b64 exec, exec, s[90:91]
	s_cbranch_execnz .LBB4_340
; %bb.341:                              ;   in Loop: Header=BB4_257 Depth=2
	s_or_b64 exec, exec, s[90:91]
	buffer_load_dword v41, off, s[0:3], s33 offset:96 ; 4-byte Folded Reload
.LBB4_342:                              ;   in Loop: Header=BB4_257 Depth=2
	s_or_b64 exec, exec, s[88:89]
	v_and_b32_e32 v53, 15, v5
	v_cndmask_b32_e32 v36, v52, v53, vcc
	v_mov_b32_e32 v34, 0
	s_mov_b64 s[90:91], 0
	v_cmp_ne_u32_e64 s[28:29], 0, v36
                                        ; implicit-def: $vgpr48
                                        ; implicit-def: $vgpr23
	s_mov_b64 s[88:89], exec
	s_and_b64 s[28:29], s[88:89], s[28:29]
	v_mov_b32_e32 v10, 1
	s_mov_b64 exec, s[28:29]
	s_cbranch_execz .LBB4_344
; %bb.343:                              ;   in Loop: Header=BB4_257 Depth=2
	v_sub_u32_e32 v7, v52, v53
	v_cndmask_b32_e32 v7, 0, v7, vcc
	v_cmp_lt_i32_e32 vcc, 0, v49
	v_add3_u32 v34, v38, v0, v7
	v_cndmask_b32_e32 v0, 0, v20, vcc
	v_sub_u32_e32 v0, v0, v49
	v_lshl_add_u32 v48, v0, 6, v30
	v_ashrrev_i32_e32 v0, 31, v48
	v_lshrrev_b32_e32 v0, 26, v0
	v_add_u32_e32 v0, v48, v0
	v_ashrrev_i32_e32 v23, 6, v0
	s_mov_b64 s[90:91], exec
.LBB4_344:                              ;   in Loop: Header=BB4_257 Depth=2
	s_or_b64 exec, exec, s[88:89]
	s_and_b64 s[88:89], s[90:91], exec
	v_lshlrev_b32_e32 v53, 11, v20
	v_mov_b32_e32 v52, 0xd0
	v_mov_b32_e32 v38, 0x88
.LBB4_345:                              ;   in Loop: Header=BB4_257 Depth=2
	s_or_b64 exec, exec, s[78:79]
	s_and_saveexec_b64 s[28:29], s[88:89]
	s_cbranch_execz .LBB4_354
.LBB4_346:                              ;   in Loop: Header=BB4_257 Depth=2
	v_ashrrev_i32_e32 v0, 31, v36
	v_lshrrev_b32_e32 v0, 23, v0
	v_add_u32_e32 v0, v36, v0
	v_ashrrev_i32_e32 v38, 9, v0
	v_sub_u32_e32 v0, v38, v23
	v_ashrrev_i32_e32 v7, 31, v48
	v_cmp_lt_i32_e32 vcc, 0, v0
	v_lshrrev_b32_e32 v30, 26, v7
	s_and_saveexec_b64 s[78:79], vcc
	s_cbranch_execz .LBB4_350
; %bb.347:                              ;   in Loop: Header=BB4_257 Depth=2
	v_add_u32_e32 v7, v48, v30
	v_and_b32_e32 v7, 0xffffffc0, v7
	v_sub_u32_e32 v7, v48, v7
	v_lshlrev_b32_e32 v8, 9, v23
	v_add3_u32 v23, v34, v7, v8
	v_ashrrev_i32_e32 v49, 31, v23
	s_mov_b64 s[88:89], 0
.LBB4_348:                              ;   Parent Loop BB4_73 Depth=1
                                        ;     Parent Loop BB4_257 Depth=2
                                        ; =>    This Inner Loop Header: Depth=3
	v_add_co_u32_e32 v7, vcc, v23, v3
	v_addc_co_u32_e32 v8, vcc, v49, v4, vcc
	flat_load_ubyte v9, v[7:8] glc slc
	flat_load_ubyte v10, v[7:8] offset:64 glc slc
	flat_load_ubyte v39, v[7:8] offset:128 glc slc
	;; [unrolled: 1-line block ×5, first 2 shown]
	s_waitcnt vmcnt(0)
	flat_load_ubyte v41, v[7:8] offset:384 glc slc
	flat_load_ubyte v42, v[7:8] offset:448 glc slc
	v_add_co_u32_e32 v7, vcc, v23, v54
	v_addc_co_u32_e32 v8, vcc, v49, v55, vcc
	v_add_co_u32_e32 v3, vcc, v3, v19
	v_addc_co_u32_e32 v4, vcc, 0, v4, vcc
	v_add_co_u32_e32 v54, vcc, v54, v19
	v_sub_u32_e32 v0, v0, v20
	v_addc_co_u32_e32 v55, vcc, 0, v55, vcc
	v_cmp_gt_i32_e32 vcc, 1, v0
	s_or_b64 s[88:89], vcc, s[88:89]
	s_waitcnt lgkmcnt(0)
	flat_store_byte v[7:8], v9 glc slc
	flat_store_byte v[7:8], v10 offset:64 glc slc
	flat_store_byte v[7:8], v39 offset:128 glc slc
	;; [unrolled: 1-line block ×5, first 2 shown]
	s_waitcnt vmcnt(0)
	flat_store_byte v[7:8], v41 offset:384 glc slc
	flat_store_byte v[7:8], v42 offset:448 glc slc
	s_andn2_b64 exec, exec, s[88:89]
	s_cbranch_execnz .LBB4_348
; %bb.349:                              ;   in Loop: Header=BB4_257 Depth=2
	s_or_b64 exec, exec, s[88:89]
	buffer_load_dword v41, off, s[0:3], s33 offset:96 ; 4-byte Folded Reload
	v_ashrrev_i32_e32 v39, 31, v60
	v_lshlrev_b32_e32 v53, 11, v20
	v_mov_b32_e32 v10, 1
	v_mov_b32_e32 v52, 0xd0
.LBB4_350:                              ;   in Loop: Header=BB4_257 Depth=2
	s_or_b64 exec, exec, s[78:79]
	v_lshlrev_b32_e32 v3, 9, v38
	v_cmp_ne_u32_e32 vcc, v36, v3
	s_and_b64 s[78:79], exec, vcc
	v_mov_b32_e32 v38, 0x88
	s_mov_b64 exec, s[78:79]
	s_cbranch_execz .LBB4_354
; %bb.351:                              ;   in Loop: Header=BB4_257 Depth=2
	v_add_u32_e32 v4, v48, v30
	v_and_b32_e32 v4, 0xffffffc0, v4
	v_sub_u32_e32 v4, v48, v4
	v_lshlrev_b32_e32 v0, 6, v0
	v_sub_u32_e32 v0, v4, v0
	v_add_u32_e32 v3, v3, v0
	v_sub_u32_e32 v0, v36, v3
	v_cmp_lt_i32_e32 vcc, 0, v0
	s_and_b64 exec, exec, vcc
	s_cbranch_execz .LBB4_354
; %bb.352:                              ;   in Loop: Header=BB4_257 Depth=2
	v_add_u32_e32 v23, v3, v34
	s_trap 2
	ds_read_b64 v[3:4], v0
	v_ashrrev_i32_e32 v30, 31, v23
	s_mov_b64 s[78:79], 0
.LBB4_353:                              ;   Parent Loop BB4_73 Depth=1
                                        ;     Parent Loop BB4_257 Depth=2
                                        ; =>    This Inner Loop Header: Depth=3
	s_waitcnt lgkmcnt(0)
	v_add_co_u32_e32 v7, vcc, v3, v23
	v_addc_co_u32_e32 v8, vcc, v4, v30, vcc
	flat_load_ubyte v9, v[7:8] glc slc
	v_add_co_u32_e32 v23, vcc, v23, v11
	v_sub_u32_e32 v0, v0, v16
	v_addc_co_u32_e32 v30, vcc, v30, v6, vcc
	v_cmp_gt_i32_e32 vcc, 1, v0
	s_or_b64 s[78:79], vcc, s[78:79]
	s_waitcnt vmcnt(0) lgkmcnt(0)
	flat_store_byte v[7:8], v9 glc slc
	s_andn2_b64 exec, exec, s[78:79]
	s_cbranch_execnz .LBB4_353
.LBB4_354:                              ;   in Loop: Header=BB4_257 Depth=2
	s_or_b64 exec, exec, s[28:29]
	v_cmp_lt_i32_e64 s[28:29], 0, v5
	s_and_saveexec_b64 s[78:79], s[12:13]
	s_cbranch_execz .LBB4_328
.LBB4_355:                              ;   in Loop: Header=BB4_257 Depth=2
	s_and_saveexec_b64 s[88:89], s[58:59]
	s_xor_b64 s[88:89], exec, s[88:89]
	s_cbranch_execz .LBB4_370
; %bb.356:                              ;   in Loop: Header=BB4_257 Depth=2
	s_and_saveexec_b64 s[90:91], s[6:7]
	s_cbranch_execz .LBB4_369
; %bb.357:                              ;   in Loop: Header=BB4_257 Depth=2
	s_mov_b64 s[94:95], exec
	v_mbcnt_lo_u32_b32 v0, s94, 0
	v_mbcnt_hi_u32_b32 v0, s95, v0
	v_cmp_eq_u32_e32 vcc, 0, v0
	s_waitcnt vmcnt(0) lgkmcnt(0)
	buffer_wbinvl1_vol
	s_and_saveexec_b64 s[92:93], vcc
	s_cbranch_execz .LBB4_359
; %bb.358:                              ;   in Loop: Header=BB4_257 Depth=2
	s_bcnt1_i32_b64 s94, s[94:95]
	v_mov_b32_e32 v34, s94
	ds_add_u64 v0, v[34:35]
	s_trap 2
.LBB4_359:                              ;   in Loop: Header=BB4_257 Depth=2
	s_or_b64 exec, exec, s[92:93]
	s_trap 2
	ds_read_b64 v[3:4], v0
	s_waitcnt lgkmcnt(0)
	v_add_co_u32_e32 v14, vcc, v14, v20
	v_addc_co_u32_e32 v15, vcc, 0, v15, vcc
	v_cmp_lt_u64_e32 vcc, v[3:4], v[14:15]
	s_and_saveexec_b64 s[92:93], vcc
	s_cbranch_execz .LBB4_368
; %bb.360:                              ;   in Loop: Header=BB4_257 Depth=2
	s_mov_b32 s48, 0
	s_mov_b64 s[94:95], 0
                                        ; implicit-def: $sgpr30_sgpr31
                                        ; implicit-def: $sgpr34_sgpr35
	s_branch .LBB4_362
.LBB4_361:                              ;   in Loop: Header=BB4_362 Depth=3
	s_or_b64 exec, exec, s[38:39]
	s_and_b64 vcc, exec, vcc
	s_or_b64 s[94:95], vcc, s[94:95]
	s_andn2_b64 vcc, s[30:31], exec
	s_and_b64 s[30:31], s[34:35], exec
	s_or_b64 s[30:31], vcc, s[30:31]
	s_andn2_b64 exec, exec, s[94:95]
	s_cbranch_execz .LBB4_366
.LBB4_362:                              ;   Parent Loop BB4_73 Depth=1
                                        ;     Parent Loop BB4_257 Depth=2
                                        ; =>    This Inner Loop Header: Depth=3
	s_add_i32 s48, s48, 1
	s_cmpk_lg_i32 s48, 0x2710
	s_cselect_b64 s[36:37], -1, 0
	s_and_b64 vcc, exec, s[36:37]
	s_cbranch_vccz .LBB4_364
; %bb.363:                              ;   in Loop: Header=BB4_362 Depth=3
	s_mov_b64 vcc, -1
	s_or_b64 s[34:35], s[34:35], exec
	s_and_saveexec_b64 s[38:39], s[36:37]
	s_cbranch_execz .LBB4_361
	s_branch .LBB4_365
.LBB4_364:                              ;   in Loop: Header=BB4_362 Depth=3
	s_trap 2
	ds_read_b64 v[3:4], v0
	s_andn2_b64 s[36:37], s[36:37], exec
	s_mov_b32 s48, 0
	s_waitcnt lgkmcnt(0)
	flat_load_dword v0, v[3:4] glc
	s_waitcnt vmcnt(0) lgkmcnt(0)
	buffer_wbinvl1_vol
	v_cmp_eq_u32_e32 vcc, 0, v0
	s_and_b64 vcc, vcc, exec
	s_or_b64 s[36:37], s[36:37], vcc
	s_mov_b64 vcc, -1
	s_or_b64 s[34:35], s[34:35], exec
	s_and_saveexec_b64 s[38:39], s[36:37]
	s_cbranch_execz .LBB4_361
.LBB4_365:                              ;   in Loop: Header=BB4_362 Depth=3
	s_sleep 1
	s_trap 2
	ds_read_b64 v[3:4], v0
	s_waitcnt lgkmcnt(0)
	s_andn2_b64 s[34:35], s[34:35], exec
	v_cmp_ge_u64_e32 vcc, v[3:4], v[14:15]
	s_orn2_b64 vcc, vcc, exec
	s_branch .LBB4_361
.LBB4_366:                              ;   in Loop: Header=BB4_257 Depth=2
	s_or_b64 exec, exec, s[94:95]
	s_and_saveexec_b64 s[94:95], s[30:31]
	s_xor_b64 s[94:95], exec, s[94:95]
	s_cbranch_execz .LBB4_368
; %bb.367:                              ;   in Loop: Header=BB4_257 Depth=2
	ds_write_b32 v0, v10
	s_trap 2
.LBB4_368:                              ;   in Loop: Header=BB4_257 Depth=2
	s_or_b64 exec, exec, s[92:93]
	;;#ASMSTART
	s_wakeup
	;;#ASMEND
.LBB4_369:                              ;   in Loop: Header=BB4_257 Depth=2
	s_or_b64 exec, exec, s[90:91]
.LBB4_370:                              ;   in Loop: Header=BB4_257 Depth=2
	s_andn2_saveexec_b64 s[88:89], s[88:89]
	s_cbranch_execz .LBB4_372
; %bb.371:                              ;   in Loop: Header=BB4_257 Depth=2
	s_waitcnt vmcnt(0) lgkmcnt(0)
	buffer_wbinvl1_vol
	s_barrier
.LBB4_372:                              ;   in Loop: Header=BB4_257 Depth=2
	s_or_b64 exec, exec, s[88:89]
	s_or_b64 exec, exec, s[78:79]
                                        ; implicit-def: $vgpr0
	s_and_saveexec_b64 s[78:79], s[18:19]
	s_xor_b64 s[78:79], exec, s[78:79]
	s_cbranch_execnz .LBB4_329
.LBB4_373:                              ;   in Loop: Header=BB4_257 Depth=2
	s_andn2_saveexec_b64 s[28:29], s[78:79]
	s_cbranch_execz .LBB4_332
.LBB4_374:                              ;   in Loop: Header=BB4_257 Depth=2
	s_and_saveexec_b64 s[78:79], s[58:59]
	s_xor_b64 s[78:79], exec, s[78:79]
	s_cbranch_execz .LBB4_389
; %bb.375:                              ;   in Loop: Header=BB4_257 Depth=2
	s_and_saveexec_b64 s[88:89], s[6:7]
	s_cbranch_execz .LBB4_388
; %bb.376:                              ;   in Loop: Header=BB4_257 Depth=2
	s_mov_b64 s[92:93], exec
	v_mbcnt_lo_u32_b32 v0, s92, 0
	v_mbcnt_hi_u32_b32 v0, s93, v0
	v_cmp_eq_u32_e32 vcc, 0, v0
	;;#ASMSTART
	s_waitcnt lgkmcnt(0) vmcnt(0)
	;;#ASMEND
	s_and_saveexec_b64 s[90:91], vcc
	s_cbranch_execz .LBB4_378
; %bb.377:                              ;   in Loop: Header=BB4_257 Depth=2
	s_bcnt1_i32_b64 s92, s[92:93]
	v_mov_b32_e32 v34, s92
	s_waitcnt lgkmcnt(0)
	ds_add_u64 v0, v[34:35]
	s_trap 2
.LBB4_378:                              ;   in Loop: Header=BB4_257 Depth=2
	s_or_b64 exec, exec, s[90:91]
	s_trap 2
	ds_read_b64 v[3:4], v0
	s_waitcnt lgkmcnt(0)
	v_add_co_u32_e32 v14, vcc, v14, v20
	v_addc_co_u32_e32 v15, vcc, 0, v15, vcc
	v_cmp_lt_u64_e32 vcc, v[3:4], v[14:15]
	s_and_saveexec_b64 s[90:91], vcc
	s_cbranch_execz .LBB4_387
; %bb.379:                              ;   in Loop: Header=BB4_257 Depth=2
	s_mov_b32 s38, 0
	s_mov_b64 s[92:93], 0
                                        ; implicit-def: $sgpr94_sgpr95
                                        ; implicit-def: $sgpr30_sgpr31
	s_branch .LBB4_381
.LBB4_380:                              ;   in Loop: Header=BB4_381 Depth=3
	s_or_b64 exec, exec, s[36:37]
	s_and_b64 vcc, exec, vcc
	s_or_b64 s[92:93], vcc, s[92:93]
	s_andn2_b64 s[94:95], s[94:95], exec
	s_and_b64 vcc, s[30:31], exec
	s_or_b64 s[94:95], s[94:95], vcc
	s_andn2_b64 exec, exec, s[92:93]
	s_cbranch_execz .LBB4_385
.LBB4_381:                              ;   Parent Loop BB4_73 Depth=1
                                        ;     Parent Loop BB4_257 Depth=2
                                        ; =>    This Inner Loop Header: Depth=3
	s_add_i32 s38, s38, 1
	s_cmpk_lg_i32 s38, 0x2710
	s_cselect_b64 s[34:35], -1, 0
	s_and_b64 vcc, exec, s[34:35]
	s_cbranch_vccz .LBB4_383
; %bb.382:                              ;   in Loop: Header=BB4_381 Depth=3
	s_mov_b64 vcc, -1
	s_or_b64 s[30:31], s[30:31], exec
	s_and_saveexec_b64 s[36:37], s[34:35]
	s_cbranch_execz .LBB4_380
	s_branch .LBB4_384
.LBB4_383:                              ;   in Loop: Header=BB4_381 Depth=3
	s_trap 2
	ds_read_b64 v[3:4], v0
	s_andn2_b64 s[34:35], s[34:35], exec
	s_mov_b32 s38, 0
	s_waitcnt vmcnt(0) lgkmcnt(0)
	flat_load_dword v0, v[3:4] glc
	s_waitcnt vmcnt(0) lgkmcnt(0)
	buffer_wbinvl1_vol
	v_cmp_eq_u32_e32 vcc, 0, v0
	s_and_b64 vcc, vcc, exec
	s_or_b64 s[34:35], s[34:35], vcc
	s_mov_b64 vcc, -1
	s_or_b64 s[30:31], s[30:31], exec
	s_and_saveexec_b64 s[36:37], s[34:35]
	s_cbranch_execz .LBB4_380
.LBB4_384:                              ;   in Loop: Header=BB4_381 Depth=3
	s_sleep 1
	s_trap 2
	ds_read_b64 v[3:4], v0
	s_waitcnt lgkmcnt(0)
	s_andn2_b64 s[30:31], s[30:31], exec
	v_cmp_ge_u64_e32 vcc, v[3:4], v[14:15]
	s_orn2_b64 vcc, vcc, exec
	s_branch .LBB4_380
.LBB4_385:                              ;   in Loop: Header=BB4_257 Depth=2
	s_or_b64 exec, exec, s[92:93]
	s_and_saveexec_b64 s[92:93], s[94:95]
	s_xor_b64 s[92:93], exec, s[92:93]
	s_cbranch_execz .LBB4_387
; %bb.386:                              ;   in Loop: Header=BB4_257 Depth=2
	ds_write_b32 v0, v10
	s_trap 2
.LBB4_387:                              ;   in Loop: Header=BB4_257 Depth=2
	s_or_b64 exec, exec, s[90:91]
	;;#ASMSTART
	s_wakeup
	;;#ASMEND
.LBB4_388:                              ;   in Loop: Header=BB4_257 Depth=2
	s_or_b64 exec, exec, s[88:89]
.LBB4_389:                              ;   in Loop: Header=BB4_257 Depth=2
	s_andn2_saveexec_b64 s[78:79], s[78:79]
	s_cbranch_execz .LBB4_391
; %bb.390:                              ;   in Loop: Header=BB4_257 Depth=2
	;;#ASMSTART
	s_waitcnt lgkmcnt(0) vmcnt(0)
	;;#ASMEND
	s_waitcnt vmcnt(0) lgkmcnt(0)
	s_barrier
.LBB4_391:                              ;   in Loop: Header=BB4_257 Depth=2
	s_or_b64 exec, exec, s[78:79]
	v_and_b32_e32 v0, 16, v57
	s_or_b64 exec, exec, s[28:29]
	v_cmp_ne_u32_e32 vcc, 0, v0
	s_and_saveexec_b64 s[28:29], vcc
	s_cbranch_execz .LBB4_256
.LBB4_392:                              ;   in Loop: Header=BB4_257 Depth=2
	s_and_saveexec_b64 s[78:79], s[22:23]
	s_cbranch_execz .LBB4_255
; %bb.393:                              ;   in Loop: Header=BB4_257 Depth=2
	flat_store_dword v[28:29], v10
	s_branch .LBB4_255
.LBB4_394:                              ;   in Loop: Header=BB4_73 Depth=1
	s_or_b64 exec, exec, s[78:79]
.LBB4_395:                              ;   in Loop: Header=BB4_73 Depth=1
	s_or_b64 exec, exec, s[76:77]
	v_cmp_gt_i32_e32 vcc, 2, v0
	s_and_saveexec_b64 s[40:41], vcc
	s_cbranch_execz .LBB4_539
; %bb.396:                              ;   in Loop: Header=BB4_73 Depth=1
	v_cmp_eq_u32_e64 s[76:77], 0, v0
	s_mov_b64 s[42:43], 0
	s_branch .LBB4_399
.LBB4_397:                              ;   in Loop: Header=BB4_399 Depth=2
	s_or_b64 exec, exec, s[76:77]
	v_add_co_u32_e32 v50, vcc, 2, v50
	v_addc_co_u32_e32 v51, vcc, 0, v51, vcc
	flat_store_dwordx2 v[24:25], v[50:51]
.LBB4_398:                              ;   in Loop: Header=BB4_399 Depth=2
	s_or_b64 exec, exec, s[28:29]
	v_add_u32_e32 v17, v54, v17
	s_mov_b64 s[76:77], 0
	s_andn2_b64 exec, exec, s[42:43]
	s_cbranch_execz .LBB4_538
.LBB4_399:                              ;   Parent Loop BB4_73 Depth=1
                                        ; =>  This Loop Header: Depth=2
                                        ;       Child Loop BB4_405 Depth 3
                                        ;       Child Loop BB4_429 Depth 3
	;; [unrolled: 1-line block ×3, first 2 shown]
	v_sub_u32_e32 v0, v22, v17
	v_min_i32_e32 v54, v54, v0
	v_and_b32_e32 v0, 8, v57
	v_cmp_ne_u32_e32 vcc, 0, v0
	s_and_saveexec_b64 s[78:79], vcc
	s_cbranch_execz .LBB4_421
; %bb.400:                              ;   in Loop: Header=BB4_399 Depth=2
	s_waitcnt vmcnt(0) lgkmcnt(0)
	v_add_co_u32_e32 v4, vcc, 8, v32
	v_addc_co_u32_e32 v5, vcc, 0, v33, vcc
	v_add_co_u32_e32 v2, vcc, 2, v50
	v_addc_co_u32_e32 v3, vcc, 0, v51, vcc
	v_cmp_lt_u64_e32 vcc, v[4:5], v[2:3]
	s_and_saveexec_b64 s[88:89], vcc
	s_cbranch_execz .LBB4_412
; %bb.401:                              ;   in Loop: Header=BB4_399 Depth=2
	v_and_b32_e32 v0, 64, v57
	s_mov_b32 s65, 0
	v_cmp_eq_u32_e32 vcc, 0, v0
	s_mov_b64 s[90:91], 0
                                        ; implicit-def: $sgpr92_sgpr93
                                        ; implicit-def: $sgpr94_sgpr95
                                        ; implicit-def: $sgpr30_sgpr31
	s_branch .LBB4_405
.LBB4_402:                              ;   in Loop: Header=BB4_405 Depth=3
	s_waitcnt vmcnt(0) lgkmcnt(0)
	v_add_co_u32_e64 v4, s[28:29], 8, v32
	v_addc_co_u32_e64 v5, s[28:29], 0, v33, s[28:29]
	v_cmp_ge_u64_e64 s[28:29], v[4:5], v[2:3]
	s_or_b64 s[38:39], s[38:39], exec
	s_orn2_b64 s[36:37], s[28:29], exec
.LBB4_403:                              ;   in Loop: Header=BB4_405 Depth=3
	s_or_b64 exec, exec, s[50:51]
	s_andn2_b64 s[28:29], s[30:31], exec
	s_and_b64 s[30:31], s[38:39], exec
	s_or_b64 s[30:31], s[28:29], s[30:31]
	s_andn2_b64 s[28:29], s[94:95], exec
	s_and_b64 s[94:95], s[36:37], exec
	s_or_b64 s[94:95], s[28:29], s[94:95]
.LBB4_404:                              ;   in Loop: Header=BB4_405 Depth=3
	s_or_b64 exec, exec, s[34:35]
	s_and_b64 s[28:29], exec, s[94:95]
	s_or_b64 s[90:91], s[28:29], s[90:91]
	s_andn2_b64 s[28:29], s[92:93], exec
	s_and_b64 s[92:93], s[30:31], exec
	s_or_b64 s[92:93], s[28:29], s[92:93]
	s_andn2_b64 exec, exec, s[90:91]
	s_cbranch_execz .LBB4_409
.LBB4_405:                              ;   Parent Loop BB4_73 Depth=1
                                        ;     Parent Loop BB4_399 Depth=2
                                        ; =>    This Inner Loop Header: Depth=3
	s_sleep 1
	s_waitcnt vmcnt(0) lgkmcnt(0)
	flat_load_dwordx2 v[32:33], v[24:25] glc
	s_or_b64 s[30:31], s[30:31], exec
	s_or_b64 s[94:95], s[94:95], exec
                                        ; implicit-def: $vgpr0
	s_and_saveexec_b64 s[34:35], vcc
	s_cbranch_execz .LBB4_404
; %bb.406:                              ;   in Loop: Header=BB4_405 Depth=3
	s_cmpk_lt_i32 s65, 0x270f
	s_cselect_b64 s[48:49], -1, 0
	s_cmpk_gt_i32 s65, 0x270e
	s_mov_b64 s[36:37], -1
	s_cbranch_scc0 .LBB4_408
; %bb.407:                              ;   in Loop: Header=BB4_405 Depth=3
	s_trap 2
	ds_read_b64 v[4:5], v0
	s_andn2_b64 s[48:49], s[48:49], exec
	s_mov_b32 s65, 0
	s_mov_b64 s[38:39], 0
	s_waitcnt vmcnt(0) lgkmcnt(0)
	flat_load_dword v0, v[4:5] glc
	s_waitcnt vmcnt(0) lgkmcnt(0)
	buffer_wbinvl1_vol
	v_cmp_eq_u32_e64 s[28:29], 0, v0
	s_and_b64 s[28:29], s[28:29], exec
	s_or_b64 s[48:49], s[48:49], s[28:29]
	s_and_saveexec_b64 s[50:51], s[48:49]
	s_cbranch_execz .LBB4_403
	s_branch .LBB4_402
.LBB4_408:                              ;   in Loop: Header=BB4_405 Depth=3
	s_add_i32 s65, s65, 1
	s_mov_b64 s[38:39], -1
                                        ; implicit-def: $vgpr0
	s_and_saveexec_b64 s[50:51], s[48:49]
	s_cbranch_execz .LBB4_403
	s_branch .LBB4_402
.LBB4_409:                              ;   in Loop: Header=BB4_399 Depth=2
	s_or_b64 exec, exec, s[90:91]
	s_xor_b64 s[28:29], s[92:93], -1
	s_and_saveexec_b64 s[90:91], s[28:29]
	s_xor_b64 s[28:29], exec, s[90:91]
	s_cbranch_execz .LBB4_411
; %bb.410:                              ;   in Loop: Header=BB4_399 Depth=2
	v_or_b32_e32 v57, 64, v57
	s_waitcnt lgkmcnt(0)
	ds_write_b32 v0, v0
	s_trap 2
.LBB4_411:                              ;   in Loop: Header=BB4_399 Depth=2
	s_or_b64 exec, exec, s[28:29]
.LBB4_412:                              ;   in Loop: Header=BB4_399 Depth=2
	s_or_b64 exec, exec, s[88:89]
	v_and_b32_e32 v0, 0x100, v57
	v_cmp_ne_u32_e32 vcc, 0, v0
	v_and_b32_e32 v0, 7, v50
	s_mov_b64 s[28:29], -1
	;;#ASMSTART
	s_wakeup
	;;#ASMEND
                                        ; implicit-def: $vgpr4_vgpr5
	s_and_saveexec_b64 s[88:89], vcc
	s_cbranch_execz .LBB4_416
; %bb.413:                              ;   in Loop: Header=BB4_399 Depth=2
	v_mad_u64_u32 v[50:51], s[28:29], v0, 24, v[12:13]
	v_ashrrev_i32_e32 v55, 31, v54
	flat_load_dword v4, v[50:51]
	s_nop 0
	flat_store_dwordx2 v[50:51], v[54:55] offset:8
	s_waitcnt vmcnt(0) lgkmcnt(0)
	v_cmp_ne_u32_e32 vcc, 1, v4
	v_cmp_eq_u32_e64 s[28:29], 1, v4
                                        ; implicit-def: $vgpr4_vgpr5
	s_and_saveexec_b64 s[90:91], s[28:29]
	s_cbranch_execz .LBB4_415
; %bb.414:                              ;   in Loop: Header=BB4_399 Depth=2
	flat_load_dword v4, v[50:51] offset:4 glc
	s_waitcnt vmcnt(0) lgkmcnt(0)
	v_ashrrev_i32_e32 v5, 31, v4
.LBB4_415:                              ;   in Loop: Header=BB4_399 Depth=2
	s_or_b64 exec, exec, s[90:91]
	s_orn2_b64 s[28:29], vcc, exec
.LBB4_416:                              ;   in Loop: Header=BB4_399 Depth=2
	s_or_b64 exec, exec, s[88:89]
	s_and_saveexec_b64 s[88:89], s[28:29]
; %bb.417:                              ;   in Loop: Header=BB4_399 Depth=2
	v_mad_i64_i32 v[4:5], s[28:29], v0, v60, 0
; %bb.418:                              ;   in Loop: Header=BB4_399 Depth=2
	s_or_b64 exec, exec, s[88:89]
	v_add_co_u32_e32 v4, vcc, v26, v4
	v_addc_co_u32_e32 v5, vcc, v27, v5, vcc
	ds_write_b64 v0, v[4:5] offset:792
	v_and_b32_e32 v0, 0x2000, v57
	v_cmp_ne_u32_e32 vcc, 0, v0
	s_and_saveexec_b64 s[28:29], vcc
	s_cbranch_execz .LBB4_420
; %bb.419:                              ;   in Loop: Header=BB4_399 Depth=2
	ds_read_b64 v[4:5], v0 offset:872
	s_waitcnt lgkmcnt(0)
	v_add_co_u32_e32 v4, vcc, 1, v4
	v_addc_co_u32_e32 v5, vcc, 0, v5, vcc
	ds_write_b64 v0, v[4:5] offset:872
.LBB4_420:                              ;   in Loop: Header=BB4_399 Depth=2
	s_or_b64 exec, exec, s[28:29]
	v_mov_b32_e32 v51, v3
	v_mov_b32_e32 v50, v2
.LBB4_421:                              ;   in Loop: Header=BB4_399 Depth=2
	s_or_b64 exec, exec, s[78:79]
	s_xor_b64 s[28:29], s[76:77], -1
	s_and_b64 s[28:29], exec, s[28:29]
	s_or_b64 s[42:43], s[28:29], s[42:43]
	s_and_saveexec_b64 s[28:29], s[12:13]
	s_cbranch_execz .LBB4_440
; %bb.422:                              ;   in Loop: Header=BB4_399 Depth=2
	s_and_saveexec_b64 s[76:77], s[58:59]
	s_xor_b64 s[76:77], exec, s[76:77]
	s_cbranch_execz .LBB4_437
; %bb.423:                              ;   in Loop: Header=BB4_399 Depth=2
	s_and_saveexec_b64 s[78:79], s[6:7]
	s_cbranch_execz .LBB4_436
; %bb.424:                              ;   in Loop: Header=BB4_399 Depth=2
	s_mov_b64 s[90:91], exec
	v_mbcnt_lo_u32_b32 v0, s90, 0
	v_mbcnt_hi_u32_b32 v0, s91, v0
	v_cmp_eq_u32_e32 vcc, 0, v0
	s_waitcnt vmcnt(0) lgkmcnt(0)
	buffer_wbinvl1_vol
	s_and_saveexec_b64 s[88:89], vcc
	s_cbranch_execz .LBB4_426
; %bb.425:                              ;   in Loop: Header=BB4_399 Depth=2
	s_bcnt1_i32_b64 s90, s[90:91]
	v_mov_b32_e32 v34, s90
	ds_add_u64 v0, v[34:35]
	s_trap 2
.LBB4_426:                              ;   in Loop: Header=BB4_399 Depth=2
	s_or_b64 exec, exec, s[88:89]
	s_trap 2
	ds_read_b64 v[2:3], v0
	s_waitcnt lgkmcnt(0)
	v_add_co_u32_e32 v14, vcc, v14, v20
	v_addc_co_u32_e32 v15, vcc, 0, v15, vcc
	v_cmp_lt_u64_e32 vcc, v[2:3], v[14:15]
	s_and_saveexec_b64 s[88:89], vcc
	s_cbranch_execz .LBB4_435
; %bb.427:                              ;   in Loop: Header=BB4_399 Depth=2
	s_mov_b32 s36, 0
	s_mov_b64 s[90:91], 0
                                        ; implicit-def: $sgpr92_sgpr93
                                        ; implicit-def: $sgpr94_sgpr95
	s_branch .LBB4_429
.LBB4_428:                              ;   in Loop: Header=BB4_429 Depth=3
	s_or_b64 exec, exec, s[34:35]
	s_and_b64 vcc, exec, vcc
	s_or_b64 s[90:91], vcc, s[90:91]
	s_andn2_b64 s[92:93], s[92:93], exec
	s_and_b64 vcc, s[94:95], exec
	s_or_b64 s[92:93], s[92:93], vcc
	s_andn2_b64 exec, exec, s[90:91]
	s_cbranch_execz .LBB4_433
.LBB4_429:                              ;   Parent Loop BB4_73 Depth=1
                                        ;     Parent Loop BB4_399 Depth=2
                                        ; =>    This Inner Loop Header: Depth=3
	s_add_i32 s36, s36, 1
	s_cmpk_lg_i32 s36, 0x2710
	s_cselect_b64 s[30:31], -1, 0
	s_and_b64 vcc, exec, s[30:31]
	s_cbranch_vccz .LBB4_431
; %bb.430:                              ;   in Loop: Header=BB4_429 Depth=3
	s_mov_b64 vcc, -1
	s_or_b64 s[94:95], s[94:95], exec
	s_and_saveexec_b64 s[34:35], s[30:31]
	s_cbranch_execz .LBB4_428
	s_branch .LBB4_432
.LBB4_431:                              ;   in Loop: Header=BB4_429 Depth=3
	s_trap 2
	ds_read_b64 v[2:3], v0
	s_andn2_b64 s[30:31], s[30:31], exec
	s_mov_b32 s36, 0
	s_waitcnt lgkmcnt(0)
	flat_load_dword v0, v[2:3] glc
	s_waitcnt vmcnt(0) lgkmcnt(0)
	buffer_wbinvl1_vol
	v_cmp_eq_u32_e32 vcc, 0, v0
	s_and_b64 vcc, vcc, exec
	s_or_b64 s[30:31], s[30:31], vcc
	s_mov_b64 vcc, -1
	s_or_b64 s[94:95], s[94:95], exec
	s_and_saveexec_b64 s[34:35], s[30:31]
	s_cbranch_execz .LBB4_428
.LBB4_432:                              ;   in Loop: Header=BB4_429 Depth=3
	s_sleep 1
	s_trap 2
	ds_read_b64 v[2:3], v0
	s_waitcnt lgkmcnt(0)
	s_andn2_b64 s[94:95], s[94:95], exec
	v_cmp_ge_u64_e32 vcc, v[2:3], v[14:15]
	s_orn2_b64 vcc, vcc, exec
	s_branch .LBB4_428
.LBB4_433:                              ;   in Loop: Header=BB4_399 Depth=2
	s_or_b64 exec, exec, s[90:91]
	s_and_saveexec_b64 s[90:91], s[92:93]
	s_xor_b64 s[90:91], exec, s[90:91]
	s_cbranch_execz .LBB4_435
; %bb.434:                              ;   in Loop: Header=BB4_399 Depth=2
	ds_write_b32 v0, v10
	s_trap 2
.LBB4_435:                              ;   in Loop: Header=BB4_399 Depth=2
	s_or_b64 exec, exec, s[88:89]
	;;#ASMSTART
	s_wakeup
	;;#ASMEND
.LBB4_436:                              ;   in Loop: Header=BB4_399 Depth=2
	s_or_b64 exec, exec, s[78:79]
.LBB4_437:                              ;   in Loop: Header=BB4_399 Depth=2
	s_andn2_saveexec_b64 s[76:77], s[76:77]
	s_cbranch_execz .LBB4_439
; %bb.438:                              ;   in Loop: Header=BB4_399 Depth=2
	s_waitcnt vmcnt(0) lgkmcnt(0)
	buffer_wbinvl1_vol
	s_barrier
.LBB4_439:                              ;   in Loop: Header=BB4_399 Depth=2
	s_or_b64 exec, exec, s[76:77]
.LBB4_440:                              ;   in Loop: Header=BB4_399 Depth=2
	s_or_b64 exec, exec, s[28:29]
                                        ; implicit-def: $vgpr0
	s_and_saveexec_b64 s[28:29], s[18:19]
	s_xor_b64 s[28:29], exec, s[28:29]
	s_cbranch_execz .LBB4_445
; %bb.441:                              ;   in Loop: Header=BB4_399 Depth=2
	s_trap 2
	ds_read_b32 v0, v0
	v_cmp_lt_i32_e32 vcc, 0, v54
	v_and_b32_e32 v2, 16, v57
	s_waitcnt lgkmcnt(0)
	v_readfirstlane_b32 s76, v0
	s_cmp_eq_u32 s76, 0
	s_cselect_b64 s[76:77], -1, 0
	s_and_b64 s[76:77], vcc, s[76:77]
	v_cmp_ne_u32_e32 vcc, 0, v2
	v_and_b32_e32 v0, 16, v57
	s_and_b64 s[78:79], vcc, s[76:77]
	s_and_saveexec_b64 s[76:77], s[78:79]
	s_cbranch_execz .LBB4_443
; %bb.442:                              ;   in Loop: Header=BB4_399 Depth=2
	v_mov_b32_e32 v0, 1
	s_waitcnt vmcnt(0)
	buffer_wbinvl1_vol
.LBB4_443:                              ;   in Loop: Header=BB4_399 Depth=2
	s_or_b64 exec, exec, s[76:77]
	s_andn2_saveexec_b64 s[28:29], s[28:29]
	s_cbranch_execnz .LBB4_446
.LBB4_444:                              ;   in Loop: Header=BB4_399 Depth=2
	s_or_b64 exec, exec, s[28:29]
	v_cmp_ne_u32_e32 vcc, 0, v0
	s_and_saveexec_b64 s[28:29], vcc
	s_cbranch_execz .LBB4_398
	s_branch .LBB4_464
.LBB4_445:                              ;   in Loop: Header=BB4_399 Depth=2
	s_andn2_saveexec_b64 s[28:29], s[28:29]
	s_cbranch_execz .LBB4_444
.LBB4_446:                              ;   in Loop: Header=BB4_399 Depth=2
	s_and_saveexec_b64 s[76:77], s[58:59]
	s_xor_b64 s[76:77], exec, s[76:77]
	s_cbranch_execz .LBB4_461
; %bb.447:                              ;   in Loop: Header=BB4_399 Depth=2
	s_and_saveexec_b64 s[78:79], s[6:7]
	s_cbranch_execz .LBB4_460
; %bb.448:                              ;   in Loop: Header=BB4_399 Depth=2
	s_mov_b64 s[90:91], exec
	v_mbcnt_lo_u32_b32 v0, s90, 0
	v_mbcnt_hi_u32_b32 v0, s91, v0
	v_cmp_eq_u32_e32 vcc, 0, v0
	;;#ASMSTART
	s_waitcnt lgkmcnt(0) vmcnt(0)
	;;#ASMEND
	s_and_saveexec_b64 s[88:89], vcc
	s_cbranch_execz .LBB4_450
; %bb.449:                              ;   in Loop: Header=BB4_399 Depth=2
	s_bcnt1_i32_b64 s90, s[90:91]
	v_mov_b32_e32 v34, s90
	s_waitcnt lgkmcnt(0)
	ds_add_u64 v0, v[34:35]
	s_trap 2
.LBB4_450:                              ;   in Loop: Header=BB4_399 Depth=2
	s_or_b64 exec, exec, s[88:89]
	s_trap 2
	ds_read_b64 v[2:3], v0
	s_waitcnt lgkmcnt(0)
	v_add_co_u32_e32 v14, vcc, v14, v20
	v_addc_co_u32_e32 v15, vcc, 0, v15, vcc
	v_cmp_lt_u64_e32 vcc, v[2:3], v[14:15]
	s_and_saveexec_b64 s[88:89], vcc
	s_cbranch_execz .LBB4_459
; %bb.451:                              ;   in Loop: Header=BB4_399 Depth=2
	s_mov_b32 s36, 0
	s_mov_b64 s[90:91], 0
                                        ; implicit-def: $sgpr92_sgpr93
                                        ; implicit-def: $sgpr94_sgpr95
	s_branch .LBB4_453
.LBB4_452:                              ;   in Loop: Header=BB4_453 Depth=3
	s_or_b64 exec, exec, s[34:35]
	s_and_b64 vcc, exec, vcc
	s_or_b64 s[90:91], vcc, s[90:91]
	s_andn2_b64 s[92:93], s[92:93], exec
	s_and_b64 vcc, s[94:95], exec
	s_or_b64 s[92:93], s[92:93], vcc
	s_andn2_b64 exec, exec, s[90:91]
	s_cbranch_execz .LBB4_457
.LBB4_453:                              ;   Parent Loop BB4_73 Depth=1
                                        ;     Parent Loop BB4_399 Depth=2
                                        ; =>    This Inner Loop Header: Depth=3
	s_add_i32 s36, s36, 1
	s_cmpk_lg_i32 s36, 0x2710
	s_cselect_b64 s[30:31], -1, 0
	s_and_b64 vcc, exec, s[30:31]
	s_cbranch_vccz .LBB4_455
; %bb.454:                              ;   in Loop: Header=BB4_453 Depth=3
	s_mov_b64 vcc, -1
	s_or_b64 s[94:95], s[94:95], exec
	s_and_saveexec_b64 s[34:35], s[30:31]
	s_cbranch_execz .LBB4_452
	s_branch .LBB4_456
.LBB4_455:                              ;   in Loop: Header=BB4_453 Depth=3
	s_trap 2
	ds_read_b64 v[2:3], v0
	s_andn2_b64 s[30:31], s[30:31], exec
	s_mov_b32 s36, 0
	s_waitcnt vmcnt(0) lgkmcnt(0)
	flat_load_dword v0, v[2:3] glc
	s_waitcnt vmcnt(0) lgkmcnt(0)
	buffer_wbinvl1_vol
	v_cmp_eq_u32_e32 vcc, 0, v0
	s_and_b64 vcc, vcc, exec
	s_or_b64 s[30:31], s[30:31], vcc
	s_mov_b64 vcc, -1
	s_or_b64 s[94:95], s[94:95], exec
	s_and_saveexec_b64 s[34:35], s[30:31]
	s_cbranch_execz .LBB4_452
.LBB4_456:                              ;   in Loop: Header=BB4_453 Depth=3
	s_sleep 1
	s_trap 2
	ds_read_b64 v[2:3], v0
	s_waitcnt lgkmcnt(0)
	s_andn2_b64 s[94:95], s[94:95], exec
	v_cmp_ge_u64_e32 vcc, v[2:3], v[14:15]
	s_orn2_b64 vcc, vcc, exec
	s_branch .LBB4_452
.LBB4_457:                              ;   in Loop: Header=BB4_399 Depth=2
	s_or_b64 exec, exec, s[90:91]
	s_and_saveexec_b64 s[90:91], s[92:93]
	s_xor_b64 s[90:91], exec, s[90:91]
	s_cbranch_execz .LBB4_459
; %bb.458:                              ;   in Loop: Header=BB4_399 Depth=2
	ds_write_b32 v0, v10
	s_trap 2
.LBB4_459:                              ;   in Loop: Header=BB4_399 Depth=2
	s_or_b64 exec, exec, s[88:89]
	;;#ASMSTART
	s_wakeup
	;;#ASMEND
.LBB4_460:                              ;   in Loop: Header=BB4_399 Depth=2
	s_or_b64 exec, exec, s[78:79]
.LBB4_461:                              ;   in Loop: Header=BB4_399 Depth=2
	s_andn2_saveexec_b64 s[76:77], s[76:77]
	s_cbranch_execz .LBB4_463
; %bb.462:                              ;   in Loop: Header=BB4_399 Depth=2
	;;#ASMSTART
	s_waitcnt lgkmcnt(0) vmcnt(0)
	;;#ASMEND
	s_waitcnt vmcnt(0) lgkmcnt(0)
	s_barrier
.LBB4_463:                              ;   in Loop: Header=BB4_399 Depth=2
	s_or_b64 exec, exec, s[76:77]
	v_and_b32_e32 v0, 16, v57
	s_or_b64 exec, exec, s[28:29]
	v_cmp_ne_u32_e32 vcc, 0, v0
	s_and_saveexec_b64 s[28:29], vcc
	s_cbranch_execz .LBB4_398
.LBB4_464:                              ;   in Loop: Header=BB4_399 Depth=2
	s_and_saveexec_b64 s[76:77], s[22:23]
	s_cbranch_execz .LBB4_397
; %bb.465:                              ;   in Loop: Header=BB4_399 Depth=2
	flat_store_dword v[28:29], v10
	s_branch .LBB4_397
.LBB4_466:                              ;   in Loop: Header=BB4_73 Depth=1
	s_or_b64 exec, exec, s[74:75]
.LBB4_467:                              ;   in Loop: Header=BB4_73 Depth=1
	s_or_b64 exec, exec, s[42:43]
	v_cmp_gt_i32_e32 vcc, 2, v0
	s_and_saveexec_b64 s[42:43], vcc
	s_cbranch_execz .LBB4_542
; %bb.468:                              ;   in Loop: Header=BB4_73 Depth=1
	v_cmp_eq_u32_e64 s[76:77], 0, v0
	s_mov_b64 s[74:75], 0
	s_branch .LBB4_471
.LBB4_469:                              ;   in Loop: Header=BB4_471 Depth=2
	s_or_b64 exec, exec, s[76:77]
	v_add_co_u32_e32 v50, vcc, 2, v50
	v_addc_co_u32_e32 v51, vcc, 0, v51, vcc
	flat_store_dwordx2 v[24:25], v[50:51]
.LBB4_470:                              ;   in Loop: Header=BB4_471 Depth=2
	s_or_b64 exec, exec, s[28:29]
	v_add_u32_e32 v17, v2, v17
	s_mov_b64 s[76:77], 0
	s_andn2_b64 exec, exec, s[74:75]
	s_cbranch_execz .LBB4_541
.LBB4_471:                              ;   Parent Loop BB4_73 Depth=1
                                        ; =>  This Loop Header: Depth=2
                                        ;       Child Loop BB4_477 Depth 3
                                        ;       Child Loop BB4_501 Depth 3
	;; [unrolled: 1-line block ×3, first 2 shown]
	v_sub_u32_e32 v0, v22, v17
	v_min_i32_e32 v2, v2, v0
	v_and_b32_e32 v0, 8, v57
	v_cmp_ne_u32_e32 vcc, 0, v0
	s_and_saveexec_b64 s[78:79], vcc
	s_cbranch_execz .LBB4_493
; %bb.472:                              ;   in Loop: Header=BB4_471 Depth=2
	s_waitcnt vmcnt(0) lgkmcnt(0)
	v_add_co_u32_e32 v7, vcc, 8, v32
	v_addc_co_u32_e32 v8, vcc, 0, v33, vcc
	v_add_co_u32_e32 v4, vcc, 2, v50
	v_addc_co_u32_e32 v5, vcc, 0, v51, vcc
	v_cmp_lt_u64_e32 vcc, v[7:8], v[4:5]
	s_and_saveexec_b64 s[88:89], vcc
	s_cbranch_execz .LBB4_484
; %bb.473:                              ;   in Loop: Header=BB4_471 Depth=2
	v_and_b32_e32 v0, 64, v57
	s_mov_b32 s65, 0
	v_cmp_eq_u32_e32 vcc, 0, v0
	s_mov_b64 s[90:91], 0
                                        ; implicit-def: $sgpr92_sgpr93
                                        ; implicit-def: $sgpr94_sgpr95
                                        ; implicit-def: $sgpr30_sgpr31
	s_branch .LBB4_477
.LBB4_474:                              ;   in Loop: Header=BB4_477 Depth=3
	s_waitcnt vmcnt(0) lgkmcnt(0)
	v_add_co_u32_e64 v7, s[28:29], 8, v32
	v_addc_co_u32_e64 v8, s[28:29], 0, v33, s[28:29]
	v_cmp_ge_u64_e64 s[28:29], v[7:8], v[4:5]
	s_or_b64 s[38:39], s[38:39], exec
	s_orn2_b64 s[36:37], s[28:29], exec
.LBB4_475:                              ;   in Loop: Header=BB4_477 Depth=3
	s_or_b64 exec, exec, s[50:51]
	s_andn2_b64 s[28:29], s[30:31], exec
	s_and_b64 s[30:31], s[38:39], exec
	s_or_b64 s[30:31], s[28:29], s[30:31]
	s_andn2_b64 s[28:29], s[94:95], exec
	s_and_b64 s[94:95], s[36:37], exec
	s_or_b64 s[94:95], s[28:29], s[94:95]
.LBB4_476:                              ;   in Loop: Header=BB4_477 Depth=3
	s_or_b64 exec, exec, s[34:35]
	s_and_b64 s[28:29], exec, s[94:95]
	s_or_b64 s[90:91], s[28:29], s[90:91]
	s_andn2_b64 s[28:29], s[92:93], exec
	s_and_b64 s[92:93], s[30:31], exec
	s_or_b64 s[92:93], s[28:29], s[92:93]
	s_andn2_b64 exec, exec, s[90:91]
	s_cbranch_execz .LBB4_481
.LBB4_477:                              ;   Parent Loop BB4_73 Depth=1
                                        ;     Parent Loop BB4_471 Depth=2
                                        ; =>    This Inner Loop Header: Depth=3
	s_sleep 1
	s_waitcnt vmcnt(0) lgkmcnt(0)
	flat_load_dwordx2 v[32:33], v[24:25] glc
	s_or_b64 s[30:31], s[30:31], exec
	s_or_b64 s[94:95], s[94:95], exec
                                        ; implicit-def: $vgpr0
	s_and_saveexec_b64 s[34:35], vcc
	s_cbranch_execz .LBB4_476
; %bb.478:                              ;   in Loop: Header=BB4_477 Depth=3
	s_cmpk_lt_i32 s65, 0x270f
	s_cselect_b64 s[48:49], -1, 0
	s_cmpk_gt_i32 s65, 0x270e
	s_mov_b64 s[36:37], -1
	s_cbranch_scc0 .LBB4_480
; %bb.479:                              ;   in Loop: Header=BB4_477 Depth=3
	s_trap 2
	ds_read_b64 v[7:8], v0
	s_andn2_b64 s[48:49], s[48:49], exec
	s_mov_b32 s65, 0
	s_mov_b64 s[38:39], 0
	s_waitcnt vmcnt(0) lgkmcnt(0)
	flat_load_dword v0, v[7:8] glc
	s_waitcnt vmcnt(0) lgkmcnt(0)
	buffer_wbinvl1_vol
	v_cmp_eq_u32_e64 s[28:29], 0, v0
	s_and_b64 s[28:29], s[28:29], exec
	s_or_b64 s[48:49], s[48:49], s[28:29]
	s_and_saveexec_b64 s[50:51], s[48:49]
	s_cbranch_execz .LBB4_475
	s_branch .LBB4_474
.LBB4_480:                              ;   in Loop: Header=BB4_477 Depth=3
	s_add_i32 s65, s65, 1
	s_mov_b64 s[38:39], -1
                                        ; implicit-def: $vgpr0
	s_and_saveexec_b64 s[50:51], s[48:49]
	s_cbranch_execz .LBB4_475
	s_branch .LBB4_474
.LBB4_481:                              ;   in Loop: Header=BB4_471 Depth=2
	s_or_b64 exec, exec, s[90:91]
	s_xor_b64 s[28:29], s[92:93], -1
	s_and_saveexec_b64 s[90:91], s[28:29]
	s_xor_b64 s[28:29], exec, s[90:91]
	s_cbranch_execz .LBB4_483
; %bb.482:                              ;   in Loop: Header=BB4_471 Depth=2
	v_or_b32_e32 v57, 64, v57
	s_waitcnt lgkmcnt(0)
	ds_write_b32 v0, v0
	s_trap 2
.LBB4_483:                              ;   in Loop: Header=BB4_471 Depth=2
	s_or_b64 exec, exec, s[28:29]
.LBB4_484:                              ;   in Loop: Header=BB4_471 Depth=2
	s_or_b64 exec, exec, s[88:89]
	v_and_b32_e32 v0, 0x100, v57
	v_cmp_ne_u32_e32 vcc, 0, v0
	v_and_b32_e32 v0, 7, v50
	s_mov_b64 s[28:29], -1
	;;#ASMSTART
	s_wakeup
	;;#ASMEND
                                        ; implicit-def: $vgpr50_vgpr51
	s_and_saveexec_b64 s[88:89], vcc
	s_cbranch_execz .LBB4_488
; %bb.485:                              ;   in Loop: Header=BB4_471 Depth=2
	v_mad_u64_u32 v[54:55], s[28:29], v0, 24, v[12:13]
	v_ashrrev_i32_e32 v3, 31, v2
                                        ; implicit-def: $vgpr50_vgpr51
	flat_load_dword v7, v[54:55]
	s_nop 0
	flat_store_dwordx2 v[54:55], v[2:3] offset:8
	s_waitcnt vmcnt(0) lgkmcnt(0)
	v_cmp_ne_u32_e32 vcc, 1, v7
	v_cmp_eq_u32_e64 s[28:29], 1, v7
	s_and_saveexec_b64 s[90:91], s[28:29]
	s_cbranch_execz .LBB4_487
; %bb.486:                              ;   in Loop: Header=BB4_471 Depth=2
	flat_load_dword v50, v[54:55] offset:4 glc
	s_waitcnt vmcnt(0) lgkmcnt(0)
	v_ashrrev_i32_e32 v51, 31, v50
.LBB4_487:                              ;   in Loop: Header=BB4_471 Depth=2
	s_or_b64 exec, exec, s[90:91]
	s_orn2_b64 s[28:29], vcc, exec
.LBB4_488:                              ;   in Loop: Header=BB4_471 Depth=2
	s_or_b64 exec, exec, s[88:89]
	s_and_saveexec_b64 s[88:89], s[28:29]
; %bb.489:                              ;   in Loop: Header=BB4_471 Depth=2
	v_mad_i64_i32 v[50:51], s[28:29], v0, v60, 0
; %bb.490:                              ;   in Loop: Header=BB4_471 Depth=2
	s_or_b64 exec, exec, s[88:89]
	v_add_co_u32_e32 v7, vcc, v26, v50
	v_addc_co_u32_e32 v8, vcc, v27, v51, vcc
	ds_write_b64 v0, v[7:8] offset:784
	v_and_b32_e32 v0, 0x2000, v57
	v_cmp_ne_u32_e32 vcc, 0, v0
	s_and_saveexec_b64 s[28:29], vcc
	s_cbranch_execz .LBB4_492
; %bb.491:                              ;   in Loop: Header=BB4_471 Depth=2
	ds_read_b64 v[7:8], v0 offset:872
	s_waitcnt lgkmcnt(0)
	v_add_co_u32_e32 v7, vcc, 1, v7
	v_addc_co_u32_e32 v8, vcc, 0, v8, vcc
	ds_write_b64 v0, v[7:8] offset:872
.LBB4_492:                              ;   in Loop: Header=BB4_471 Depth=2
	s_or_b64 exec, exec, s[28:29]
	v_mov_b32_e32 v51, v5
	v_mov_b32_e32 v50, v4
.LBB4_493:                              ;   in Loop: Header=BB4_471 Depth=2
	s_or_b64 exec, exec, s[78:79]
	s_xor_b64 s[28:29], s[76:77], -1
	s_and_b64 s[28:29], exec, s[28:29]
	s_or_b64 s[74:75], s[28:29], s[74:75]
	s_and_saveexec_b64 s[28:29], s[12:13]
	s_cbranch_execz .LBB4_512
; %bb.494:                              ;   in Loop: Header=BB4_471 Depth=2
	s_and_saveexec_b64 s[76:77], s[58:59]
	s_xor_b64 s[76:77], exec, s[76:77]
	s_cbranch_execz .LBB4_509
; %bb.495:                              ;   in Loop: Header=BB4_471 Depth=2
	s_and_saveexec_b64 s[78:79], s[6:7]
	s_cbranch_execz .LBB4_508
; %bb.496:                              ;   in Loop: Header=BB4_471 Depth=2
	s_mov_b64 s[90:91], exec
	v_mbcnt_lo_u32_b32 v0, s90, 0
	v_mbcnt_hi_u32_b32 v0, s91, v0
	v_cmp_eq_u32_e32 vcc, 0, v0
	s_waitcnt vmcnt(0) lgkmcnt(0)
	buffer_wbinvl1_vol
	s_and_saveexec_b64 s[88:89], vcc
	s_cbranch_execz .LBB4_498
; %bb.497:                              ;   in Loop: Header=BB4_471 Depth=2
	s_bcnt1_i32_b64 s90, s[90:91]
	v_mov_b32_e32 v34, s90
	ds_add_u64 v0, v[34:35]
	s_trap 2
.LBB4_498:                              ;   in Loop: Header=BB4_471 Depth=2
	s_or_b64 exec, exec, s[88:89]
	s_trap 2
	ds_read_b64 v[3:4], v0
	s_waitcnt lgkmcnt(0)
	v_add_co_u32_e32 v14, vcc, v14, v20
	v_addc_co_u32_e32 v15, vcc, 0, v15, vcc
	v_cmp_lt_u64_e32 vcc, v[3:4], v[14:15]
	s_and_saveexec_b64 s[88:89], vcc
	s_cbranch_execz .LBB4_507
; %bb.499:                              ;   in Loop: Header=BB4_471 Depth=2
	s_mov_b32 s36, 0
	s_mov_b64 s[90:91], 0
                                        ; implicit-def: $sgpr92_sgpr93
                                        ; implicit-def: $sgpr94_sgpr95
	s_branch .LBB4_501
.LBB4_500:                              ;   in Loop: Header=BB4_501 Depth=3
	s_or_b64 exec, exec, s[34:35]
	s_and_b64 vcc, exec, vcc
	s_or_b64 s[90:91], vcc, s[90:91]
	s_andn2_b64 s[92:93], s[92:93], exec
	s_and_b64 vcc, s[94:95], exec
	s_or_b64 s[92:93], s[92:93], vcc
	s_andn2_b64 exec, exec, s[90:91]
	s_cbranch_execz .LBB4_505
.LBB4_501:                              ;   Parent Loop BB4_73 Depth=1
                                        ;     Parent Loop BB4_471 Depth=2
                                        ; =>    This Inner Loop Header: Depth=3
	s_add_i32 s36, s36, 1
	s_cmpk_lg_i32 s36, 0x2710
	s_cselect_b64 s[30:31], -1, 0
	s_and_b64 vcc, exec, s[30:31]
	s_cbranch_vccz .LBB4_503
; %bb.502:                              ;   in Loop: Header=BB4_501 Depth=3
	s_mov_b64 vcc, -1
	s_or_b64 s[94:95], s[94:95], exec
	s_and_saveexec_b64 s[34:35], s[30:31]
	s_cbranch_execz .LBB4_500
	s_branch .LBB4_504
.LBB4_503:                              ;   in Loop: Header=BB4_501 Depth=3
	s_trap 2
	ds_read_b64 v[3:4], v0
	s_andn2_b64 s[30:31], s[30:31], exec
	s_mov_b32 s36, 0
	s_waitcnt lgkmcnt(0)
	flat_load_dword v0, v[3:4] glc
	s_waitcnt vmcnt(0) lgkmcnt(0)
	buffer_wbinvl1_vol
	v_cmp_eq_u32_e32 vcc, 0, v0
	s_and_b64 vcc, vcc, exec
	s_or_b64 s[30:31], s[30:31], vcc
	s_mov_b64 vcc, -1
	s_or_b64 s[94:95], s[94:95], exec
	s_and_saveexec_b64 s[34:35], s[30:31]
	s_cbranch_execz .LBB4_500
.LBB4_504:                              ;   in Loop: Header=BB4_501 Depth=3
	s_sleep 1
	s_trap 2
	ds_read_b64 v[3:4], v0
	s_waitcnt lgkmcnt(0)
	s_andn2_b64 s[94:95], s[94:95], exec
	v_cmp_ge_u64_e32 vcc, v[3:4], v[14:15]
	s_orn2_b64 vcc, vcc, exec
	s_branch .LBB4_500
.LBB4_505:                              ;   in Loop: Header=BB4_471 Depth=2
	s_or_b64 exec, exec, s[90:91]
	s_and_saveexec_b64 s[90:91], s[92:93]
	s_xor_b64 s[90:91], exec, s[90:91]
	s_cbranch_execz .LBB4_507
; %bb.506:                              ;   in Loop: Header=BB4_471 Depth=2
	ds_write_b32 v0, v10
	s_trap 2
.LBB4_507:                              ;   in Loop: Header=BB4_471 Depth=2
	s_or_b64 exec, exec, s[88:89]
	;;#ASMSTART
	s_wakeup
	;;#ASMEND
.LBB4_508:                              ;   in Loop: Header=BB4_471 Depth=2
	s_or_b64 exec, exec, s[78:79]
.LBB4_509:                              ;   in Loop: Header=BB4_471 Depth=2
	s_andn2_saveexec_b64 s[76:77], s[76:77]
	s_cbranch_execz .LBB4_511
; %bb.510:                              ;   in Loop: Header=BB4_471 Depth=2
	s_waitcnt vmcnt(0) lgkmcnt(0)
	buffer_wbinvl1_vol
	s_barrier
.LBB4_511:                              ;   in Loop: Header=BB4_471 Depth=2
	s_or_b64 exec, exec, s[76:77]
.LBB4_512:                              ;   in Loop: Header=BB4_471 Depth=2
	s_or_b64 exec, exec, s[28:29]
                                        ; implicit-def: $vgpr0
	s_and_saveexec_b64 s[28:29], s[18:19]
	s_xor_b64 s[28:29], exec, s[28:29]
	s_cbranch_execz .LBB4_517
; %bb.513:                              ;   in Loop: Header=BB4_471 Depth=2
	s_trap 2
	ds_read_b32 v0, v0
	v_cmp_lt_i32_e32 vcc, 0, v2
	v_and_b32_e32 v3, 16, v57
	s_waitcnt lgkmcnt(0)
	v_readfirstlane_b32 s76, v0
	s_cmp_eq_u32 s76, 0
	s_cselect_b64 s[76:77], -1, 0
	s_and_b64 s[76:77], vcc, s[76:77]
	v_cmp_ne_u32_e32 vcc, 0, v3
	v_and_b32_e32 v0, 16, v57
	s_and_b64 s[78:79], vcc, s[76:77]
	s_and_saveexec_b64 s[76:77], s[78:79]
	s_cbranch_execz .LBB4_515
; %bb.514:                              ;   in Loop: Header=BB4_471 Depth=2
	v_mov_b32_e32 v0, 1
	s_waitcnt vmcnt(0)
	buffer_wbinvl1_vol
.LBB4_515:                              ;   in Loop: Header=BB4_471 Depth=2
	s_or_b64 exec, exec, s[76:77]
	s_andn2_saveexec_b64 s[28:29], s[28:29]
	s_cbranch_execnz .LBB4_518
.LBB4_516:                              ;   in Loop: Header=BB4_471 Depth=2
	s_or_b64 exec, exec, s[28:29]
	v_cmp_ne_u32_e32 vcc, 0, v0
	s_and_saveexec_b64 s[28:29], vcc
	s_cbranch_execz .LBB4_470
	s_branch .LBB4_536
.LBB4_517:                              ;   in Loop: Header=BB4_471 Depth=2
	s_andn2_saveexec_b64 s[28:29], s[28:29]
	s_cbranch_execz .LBB4_516
.LBB4_518:                              ;   in Loop: Header=BB4_471 Depth=2
	s_and_saveexec_b64 s[76:77], s[58:59]
	s_xor_b64 s[76:77], exec, s[76:77]
	s_cbranch_execz .LBB4_533
; %bb.519:                              ;   in Loop: Header=BB4_471 Depth=2
	s_and_saveexec_b64 s[78:79], s[6:7]
	s_cbranch_execz .LBB4_532
; %bb.520:                              ;   in Loop: Header=BB4_471 Depth=2
	s_mov_b64 s[90:91], exec
	v_mbcnt_lo_u32_b32 v0, s90, 0
	v_mbcnt_hi_u32_b32 v0, s91, v0
	v_cmp_eq_u32_e32 vcc, 0, v0
	;;#ASMSTART
	s_waitcnt lgkmcnt(0) vmcnt(0)
	;;#ASMEND
	s_and_saveexec_b64 s[88:89], vcc
	s_cbranch_execz .LBB4_522
; %bb.521:                              ;   in Loop: Header=BB4_471 Depth=2
	s_bcnt1_i32_b64 s90, s[90:91]
	v_mov_b32_e32 v34, s90
	s_waitcnt lgkmcnt(0)
	ds_add_u64 v0, v[34:35]
	s_trap 2
.LBB4_522:                              ;   in Loop: Header=BB4_471 Depth=2
	s_or_b64 exec, exec, s[88:89]
	s_trap 2
	ds_read_b64 v[3:4], v0
	s_waitcnt lgkmcnt(0)
	v_add_co_u32_e32 v14, vcc, v14, v20
	v_addc_co_u32_e32 v15, vcc, 0, v15, vcc
	v_cmp_lt_u64_e32 vcc, v[3:4], v[14:15]
	s_and_saveexec_b64 s[88:89], vcc
	s_cbranch_execz .LBB4_531
; %bb.523:                              ;   in Loop: Header=BB4_471 Depth=2
	s_mov_b32 s36, 0
	s_mov_b64 s[90:91], 0
                                        ; implicit-def: $sgpr92_sgpr93
                                        ; implicit-def: $sgpr94_sgpr95
	s_branch .LBB4_525
.LBB4_524:                              ;   in Loop: Header=BB4_525 Depth=3
	s_or_b64 exec, exec, s[34:35]
	s_and_b64 vcc, exec, vcc
	s_or_b64 s[90:91], vcc, s[90:91]
	s_andn2_b64 s[92:93], s[92:93], exec
	s_and_b64 vcc, s[94:95], exec
	s_or_b64 s[92:93], s[92:93], vcc
	s_andn2_b64 exec, exec, s[90:91]
	s_cbranch_execz .LBB4_529
.LBB4_525:                              ;   Parent Loop BB4_73 Depth=1
                                        ;     Parent Loop BB4_471 Depth=2
                                        ; =>    This Inner Loop Header: Depth=3
	s_add_i32 s36, s36, 1
	s_cmpk_lg_i32 s36, 0x2710
	s_cselect_b64 s[30:31], -1, 0
	s_and_b64 vcc, exec, s[30:31]
	s_cbranch_vccz .LBB4_527
; %bb.526:                              ;   in Loop: Header=BB4_525 Depth=3
	s_mov_b64 vcc, -1
	s_or_b64 s[94:95], s[94:95], exec
	s_and_saveexec_b64 s[34:35], s[30:31]
	s_cbranch_execz .LBB4_524
	s_branch .LBB4_528
.LBB4_527:                              ;   in Loop: Header=BB4_525 Depth=3
	s_trap 2
	ds_read_b64 v[3:4], v0
	s_andn2_b64 s[30:31], s[30:31], exec
	s_mov_b32 s36, 0
	s_waitcnt vmcnt(0) lgkmcnt(0)
	flat_load_dword v0, v[3:4] glc
	s_waitcnt vmcnt(0) lgkmcnt(0)
	buffer_wbinvl1_vol
	v_cmp_eq_u32_e32 vcc, 0, v0
	s_and_b64 vcc, vcc, exec
	s_or_b64 s[30:31], s[30:31], vcc
	s_mov_b64 vcc, -1
	s_or_b64 s[94:95], s[94:95], exec
	s_and_saveexec_b64 s[34:35], s[30:31]
	s_cbranch_execz .LBB4_524
.LBB4_528:                              ;   in Loop: Header=BB4_525 Depth=3
	s_sleep 1
	s_trap 2
	ds_read_b64 v[3:4], v0
	s_waitcnt lgkmcnt(0)
	s_andn2_b64 s[94:95], s[94:95], exec
	v_cmp_ge_u64_e32 vcc, v[3:4], v[14:15]
	s_orn2_b64 vcc, vcc, exec
	s_branch .LBB4_524
.LBB4_529:                              ;   in Loop: Header=BB4_471 Depth=2
	s_or_b64 exec, exec, s[90:91]
	s_and_saveexec_b64 s[90:91], s[92:93]
	s_xor_b64 s[90:91], exec, s[90:91]
	s_cbranch_execz .LBB4_531
; %bb.530:                              ;   in Loop: Header=BB4_471 Depth=2
	ds_write_b32 v0, v10
	s_trap 2
.LBB4_531:                              ;   in Loop: Header=BB4_471 Depth=2
	s_or_b64 exec, exec, s[88:89]
	;;#ASMSTART
	s_wakeup
	;;#ASMEND
.LBB4_532:                              ;   in Loop: Header=BB4_471 Depth=2
	s_or_b64 exec, exec, s[78:79]
.LBB4_533:                              ;   in Loop: Header=BB4_471 Depth=2
	s_andn2_saveexec_b64 s[76:77], s[76:77]
	s_cbranch_execz .LBB4_535
; %bb.534:                              ;   in Loop: Header=BB4_471 Depth=2
	;;#ASMSTART
	s_waitcnt lgkmcnt(0) vmcnt(0)
	;;#ASMEND
	s_waitcnt vmcnt(0) lgkmcnt(0)
	s_barrier
.LBB4_535:                              ;   in Loop: Header=BB4_471 Depth=2
	s_or_b64 exec, exec, s[76:77]
	v_and_b32_e32 v0, 16, v57
	s_or_b64 exec, exec, s[28:29]
	v_cmp_ne_u32_e32 vcc, 0, v0
	s_and_saveexec_b64 s[28:29], vcc
	s_cbranch_execz .LBB4_470
.LBB4_536:                              ;   in Loop: Header=BB4_471 Depth=2
	s_and_saveexec_b64 s[76:77], s[22:23]
	s_cbranch_execz .LBB4_469
; %bb.537:                              ;   in Loop: Header=BB4_471 Depth=2
	flat_store_dword v[28:29], v10
	s_branch .LBB4_469
.LBB4_538:                              ;   in Loop: Header=BB4_73 Depth=1
	s_or_b64 exec, exec, s[42:43]
.LBB4_539:                              ;   in Loop: Header=BB4_73 Depth=1
	s_or_b64 exec, exec, s[40:41]
	s_andn2_saveexec_b64 s[40:41], s[74:75]
	s_cbranch_execnz .LBB4_253
.LBB4_540:                              ;   in Loop: Header=BB4_73 Depth=1
	s_or_b64 exec, exec, s[40:41]
	s_andn2_b64 vcc, exec, s[62:63]
	s_cbranch_vccz .LBB4_543
	s_branch .LBB4_805
.LBB4_541:                              ;   in Loop: Header=BB4_73 Depth=1
	s_or_b64 exec, exec, s[74:75]
.LBB4_542:                              ;   in Loop: Header=BB4_73 Depth=1
	s_or_b64 exec, exec, s[42:43]
	s_or_b64 exec, exec, s[40:41]
	s_andn2_b64 vcc, exec, s[62:63]
	s_cbranch_vccnz .LBB4_805
.LBB4_543:                              ;   in Loop: Header=BB4_73 Depth=1
	s_mov_b32 s50, 1
.LBB4_544:                              ;   Parent Loop BB4_73 Depth=1
                                        ; =>  This Loop Header: Depth=2
                                        ;       Child Loop BB4_547 Depth 3
                                        ;         Child Loop BB4_555 Depth 4
                                        ;         Child Loop BB4_583 Depth 4
	;; [unrolled: 1-line block ×4, first 2 shown]
                                        ;           Child Loop BB4_626 Depth 5
                                        ;         Child Loop BB4_632 Depth 4
                                        ;           Child Loop BB4_633 Depth 5
                                        ;         Child Loop BB4_642 Depth 4
                                        ;         Child Loop BB4_647 Depth 4
                                        ;           Child Loop BB4_648 Depth 5
                                        ;         Child Loop BB4_660 Depth 4
                                        ;         Child Loop BB4_665 Depth 4
	;; [unrolled: 1-line block ×6, first 2 shown]
                                        ;       Child Loop BB4_729 Depth 3
                                        ;         Child Loop BB4_735 Depth 4
                                        ;         Child Loop BB4_763 Depth 4
	;; [unrolled: 1-line block ×3, first 2 shown]
	v_mov_b32_e32 v0, 0
	s_waitcnt vmcnt(0)
	v_mov_b32_e32 v54, v41
	v_mov_b32_e32 v17, 0
	s_and_saveexec_b64 s[74:75], s[26:27]
	s_cbranch_execz .LBB4_726
; %bb.545:                              ;   in Loop: Header=BB4_544 Depth=2
	buffer_load_dword v2, off, s[0:3], s33 offset:100 ; 4-byte Folded Reload
	buffer_load_dword v3, off, s[0:3], s33 offset:104 ; 4-byte Folded Reload
	s_sub_i32 s28, s52, s50
	s_ashr_i32 s29, s28, 31
	s_lshl_b64 s[28:29], s[28:29], 2
	v_mov_b32_e32 v0, s29
	v_mov_b32_e32 v5, v41
	s_mov_b32 s51, 1
	s_mov_b64 s[78:79], -1
	v_mov_b32_e32 v17, 0
	s_mov_b64 s[76:77], 0
	v_mov_b32_e32 v54, v5
	buffer_load_dword v4, off, s[0:3], s33 offset:108 ; 4-byte Folded Reload
	s_waitcnt vmcnt(0)
	v_add_co_u32_e32 v2, vcc, s28, v2
	v_addc_co_u32_e32 v3, vcc, v3, v0, vcc
	flat_load_dword v0, v[2:3]
	s_waitcnt vmcnt(0) lgkmcnt(0)
	v_ashrrev_i32_e32 v2, 31, v0
	buffer_load_dword v3, off, s[0:3], s33 offset:112 ; 4-byte Folded Reload
	buffer_load_dword v7, off, s[0:3], s33 offset:76 ; 4-byte Folded Reload
	;; [unrolled: 1-line block ×3, first 2 shown]
	s_waitcnt vmcnt(2)
	v_mul_lo_u32 v3, v3, v0
	s_waitcnt vmcnt(0)
	v_mad_u64_u32 v[40:41], s[28:29], v4, v0, v[7:8]
	v_mul_lo_u32 v0, v4, v2
	v_add3_u32 v41, v3, v41, v0
	s_branch .LBB4_547
.LBB4_546:                              ;   in Loop: Header=BB4_547 Depth=3
	s_or_b64 exec, exec, s[28:29]
	v_add_u32_e32 v17, v54, v17
	v_cmp_ge_i32_e32 vcc, v17, v22
	s_xor_b64 s[28:29], s[78:79], -1
	s_or_b64 s[28:29], s[28:29], vcc
	s_and_b64 s[28:29], exec, s[28:29]
	s_or_b64 s[76:77], s[28:29], s[76:77]
	s_mov_b64 s[78:79], 0
	v_mov_b32_e32 v0, s51
	s_mov_b32 s51, 2
	s_andn2_b64 exec, exec, s[76:77]
	s_cbranch_execz .LBB4_801
.LBB4_547:                              ;   Parent Loop BB4_73 Depth=1
                                        ;     Parent Loop BB4_544 Depth=2
                                        ; =>    This Loop Header: Depth=3
                                        ;         Child Loop BB4_555 Depth 4
                                        ;         Child Loop BB4_583 Depth 4
	;; [unrolled: 1-line block ×4, first 2 shown]
                                        ;           Child Loop BB4_626 Depth 5
                                        ;         Child Loop BB4_632 Depth 4
                                        ;           Child Loop BB4_633 Depth 5
                                        ;         Child Loop BB4_642 Depth 4
                                        ;         Child Loop BB4_647 Depth 4
                                        ;           Child Loop BB4_648 Depth 5
                                        ;         Child Loop BB4_660 Depth 4
                                        ;         Child Loop BB4_665 Depth 4
	;; [unrolled: 1-line block ×6, first 2 shown]
	s_and_saveexec_b64 s[28:29], s[4:5]
	s_cbranch_execz .LBB4_549
; %bb.548:                              ;   in Loop: Header=BB4_547 Depth=3
	s_trap 2
	ds_read_b128 v[2:5], v0
	v_ashrrev_i32_e32 v7, 31, v17
	s_waitcnt lgkmcnt(0)
	v_add_co_u32_e32 v0, vcc, v2, v40
	v_addc_co_u32_e32 v3, vcc, v3, v41, vcc
	v_add_co_u32_e32 v2, vcc, v0, v17
	v_addc_co_u32_e32 v3, vcc, v3, v7, vcc
	ds_write_b64 v0, v[2:3]
	v_add_co_u32_e32 v0, vcc, v4, v40
	v_addc_co_u32_e32 v2, vcc, v5, v41, vcc
	v_add_co_u32_e32 v0, vcc, v0, v17
	v_addc_co_u32_e32 v2, vcc, v2, v7, vcc
	v_cmp_ne_u64_e32 vcc, 0, v[4:5]
	v_cndmask_b32_e32 v3, 0, v2, vcc
	v_cndmask_b32_e32 v2, 0, v0, vcc
	ds_write_b64 v0, v[2:3]
.LBB4_549:                              ;   in Loop: Header=BB4_547 Depth=3
	s_or_b64 exec, exec, s[28:29]
	v_sub_u32_e32 v0, v22, v17
	v_min_i32_e32 v54, v54, v0
	v_and_b32_e32 v0, 12, v57
	v_cmp_ne_u32_e32 vcc, 0, v0
	s_and_saveexec_b64 s[40:41], vcc
	s_cbranch_execz .LBB4_575
; %bb.550:                              ;   in Loop: Header=BB4_547 Depth=3
	v_and_b32_e32 v34, 8, v57
	s_waitcnt vmcnt(0)
	v_add_co_u32_e32 v4, vcc, v32, v34
	v_addc_co_u32_e32 v5, vcc, 0, v33, vcc
	v_add_co_u32_e32 v2, vcc, 2, v50
	v_addc_co_u32_e32 v3, vcc, 0, v51, vcc
	v_cmp_lt_u64_e32 vcc, v[4:5], v[2:3]
	s_and_saveexec_b64 s[42:43], vcc
	s_cbranch_execz .LBB4_562
; %bb.551:                              ;   in Loop: Header=BB4_547 Depth=3
	v_and_b32_e32 v0, 64, v57
	s_mov_b32 s65, 0
	v_cmp_eq_u32_e32 vcc, 0, v0
	s_mov_b64 s[88:89], 0
                                        ; implicit-def: $sgpr90_sgpr91
                                        ; implicit-def: $sgpr92_sgpr93
                                        ; implicit-def: $sgpr94_sgpr95
	s_branch .LBB4_555
.LBB4_552:                              ;   in Loop: Header=BB4_555 Depth=4
	s_waitcnt vmcnt(0) lgkmcnt(0)
	v_add_co_u32_e64 v4, s[28:29], v32, v34
	v_addc_co_u32_e64 v5, s[28:29], 0, v33, s[28:29]
	v_cmp_ge_u64_e64 s[28:29], v[4:5], v[2:3]
	s_or_b64 s[36:37], s[36:37], exec
	s_orn2_b64 s[34:35], s[28:29], exec
.LBB4_553:                              ;   in Loop: Header=BB4_555 Depth=4
	s_or_b64 exec, exec, s[48:49]
	s_andn2_b64 s[28:29], s[94:95], exec
	s_and_b64 s[94:95], s[36:37], exec
	s_or_b64 s[94:95], s[28:29], s[94:95]
	s_andn2_b64 s[28:29], s[92:93], exec
	s_and_b64 s[92:93], s[34:35], exec
	s_or_b64 s[92:93], s[28:29], s[92:93]
.LBB4_554:                              ;   in Loop: Header=BB4_555 Depth=4
	s_or_b64 exec, exec, s[30:31]
	s_and_b64 s[28:29], exec, s[92:93]
	s_or_b64 s[88:89], s[28:29], s[88:89]
	s_andn2_b64 s[28:29], s[90:91], exec
	s_and_b64 s[90:91], s[94:95], exec
	s_or_b64 s[90:91], s[28:29], s[90:91]
	s_andn2_b64 exec, exec, s[88:89]
	s_cbranch_execz .LBB4_559
.LBB4_555:                              ;   Parent Loop BB4_73 Depth=1
                                        ;     Parent Loop BB4_544 Depth=2
                                        ;       Parent Loop BB4_547 Depth=3
                                        ; =>      This Inner Loop Header: Depth=4
	s_sleep 1
	s_waitcnt vmcnt(0) lgkmcnt(0)
	flat_load_dwordx2 v[32:33], v[24:25] glc
	s_or_b64 s[94:95], s[94:95], exec
	s_or_b64 s[92:93], s[92:93], exec
                                        ; implicit-def: $vgpr0
	s_and_saveexec_b64 s[30:31], vcc
	s_cbranch_execz .LBB4_554
; %bb.556:                              ;   in Loop: Header=BB4_555 Depth=4
	s_cmpk_lt_i32 s65, 0x270f
	s_cselect_b64 s[38:39], -1, 0
	s_cmpk_gt_i32 s65, 0x270e
	s_mov_b64 s[34:35], -1
	s_cbranch_scc0 .LBB4_558
; %bb.557:                              ;   in Loop: Header=BB4_555 Depth=4
	s_trap 2
	ds_read_b64 v[4:5], v0
	s_andn2_b64 s[38:39], s[38:39], exec
	s_mov_b32 s65, 0
	s_mov_b64 s[36:37], 0
	s_waitcnt vmcnt(0) lgkmcnt(0)
	flat_load_dword v0, v[4:5] glc
	s_waitcnt vmcnt(0) lgkmcnt(0)
	buffer_wbinvl1_vol
	v_cmp_eq_u32_e64 s[28:29], 0, v0
	s_and_b64 s[28:29], s[28:29], exec
	s_or_b64 s[38:39], s[38:39], s[28:29]
	s_and_saveexec_b64 s[48:49], s[38:39]
	s_cbranch_execz .LBB4_553
	s_branch .LBB4_552
.LBB4_558:                              ;   in Loop: Header=BB4_555 Depth=4
	s_add_i32 s65, s65, 1
	s_mov_b64 s[36:37], -1
                                        ; implicit-def: $vgpr0
	s_and_saveexec_b64 s[48:49], s[38:39]
	s_cbranch_execz .LBB4_553
	s_branch .LBB4_552
.LBB4_559:                              ;   in Loop: Header=BB4_547 Depth=3
	s_or_b64 exec, exec, s[88:89]
	s_xor_b64 s[28:29], s[90:91], -1
	s_and_saveexec_b64 s[88:89], s[28:29]
	s_xor_b64 s[28:29], exec, s[88:89]
	s_cbranch_execz .LBB4_561
; %bb.560:                              ;   in Loop: Header=BB4_547 Depth=3
	v_or_b32_e32 v57, 64, v57
	s_waitcnt lgkmcnt(0)
	ds_write_b32 v0, v0
	s_trap 2
.LBB4_561:                              ;   in Loop: Header=BB4_547 Depth=3
	s_or_b64 exec, exec, s[28:29]
.LBB4_562:                              ;   in Loop: Header=BB4_547 Depth=3
	s_or_b64 exec, exec, s[42:43]
	v_and_b32_e32 v0, 0x108, v57
	v_cmp_ne_u32_e32 vcc, s64, v0
	;;#ASMSTART
	s_wakeup
	;;#ASMEND
	s_and_saveexec_b64 s[28:29], vcc
	s_xor_b64 s[28:29], exec, s[28:29]
                                        ; implicit-def: $vgpr0
; %bb.563:                              ;   in Loop: Header=BB4_547 Depth=3
	v_and_b32_e32 v0, 7, v50
                                        ; implicit-def: $vgpr50_vgpr51
; %bb.564:                              ;   in Loop: Header=BB4_547 Depth=3
	s_andn2_saveexec_b64 s[28:29], s[28:29]
	s_cbranch_execz .LBB4_566
; %bb.565:                              ;   in Loop: Header=BB4_547 Depth=3
	v_and_b32_e32 v0, 7, v50
	v_mad_u64_u32 v[4:5], s[42:43], v0, 24, v[12:13]
	v_ashrrev_i32_e32 v55, 31, v54
	flat_store_dwordx2 v[4:5], v[54:55] offset:8
.LBB4_566:                              ;   in Loop: Header=BB4_547 Depth=3
	s_or_b64 exec, exec, s[28:29]
	v_and_b32_e32 v4, 0x100, v57
	v_cmp_ne_u32_e32 vcc, 0, v4
	s_mov_b64 s[28:29], -1
                                        ; implicit-def: $vgpr4_vgpr5
	s_and_saveexec_b64 s[42:43], vcc
	s_cbranch_execz .LBB4_570
; %bb.567:                              ;   in Loop: Header=BB4_547 Depth=3
	v_mad_u64_u32 v[50:51], s[28:29], v0, 24, v[12:13]
	v_mov_b32_e32 v4, v51
	v_mad_u64_u32 v[4:5], s[28:29], v35, 24, v[4:5]
	v_mov_b32_e32 v51, v4
	flat_load_dword v4, v[50:51]
	s_waitcnt vmcnt(0) lgkmcnt(0)
	v_cmp_ne_u32_e32 vcc, 1, v4
	v_cmp_eq_u32_e64 s[28:29], 1, v4
                                        ; implicit-def: $vgpr4_vgpr5
	s_and_saveexec_b64 s[88:89], s[28:29]
	s_cbranch_execz .LBB4_569
; %bb.568:                              ;   in Loop: Header=BB4_547 Depth=3
	flat_load_dword v4, v[50:51] offset:4 glc
	s_waitcnt vmcnt(0) lgkmcnt(0)
	v_ashrrev_i32_e32 v5, 31, v4
.LBB4_569:                              ;   in Loop: Header=BB4_547 Depth=3
	s_or_b64 exec, exec, s[88:89]
	s_orn2_b64 s[28:29], vcc, exec
.LBB4_570:                              ;   in Loop: Header=BB4_547 Depth=3
	s_or_b64 exec, exec, s[42:43]
	s_and_saveexec_b64 s[42:43], s[28:29]
	s_cbranch_execz .LBB4_572
; %bb.571:                              ;   in Loop: Header=BB4_547 Depth=3
	v_mul_lo_u32 v7, v35, v60
	v_mul_lo_u32 v8, v0, v39
	v_mad_u64_u32 v[4:5], s[28:29], v0, v60, 0
	v_add3_u32 v5, v5, v8, v7
.LBB4_572:                              ;   in Loop: Header=BB4_547 Depth=3
	s_or_b64 exec, exec, s[42:43]
	v_cmp_eq_u32_e32 vcc, 0, v34
	v_cndmask_b32_e32 v0, v52, v38, vcc
	v_add_co_u32_e32 v4, vcc, v26, v4
	v_addc_co_u32_e32 v5, vcc, v27, v5, vcc
	v_add_u32_e32 v0, v0, v0
	ds_write_b64 v0, v[4:5] offset:584
	v_and_b32_e32 v0, 0x2000, v57
	v_cmp_ne_u32_e32 vcc, 0, v0
	s_and_saveexec_b64 s[28:29], vcc
	s_cbranch_execz .LBB4_574
; %bb.573:                              ;   in Loop: Header=BB4_547 Depth=3
	ds_read_b64 v[4:5], v0 offset:872
	s_waitcnt lgkmcnt(0)
	v_add_co_u32_e32 v4, vcc, 1, v4
	v_addc_co_u32_e32 v5, vcc, 0, v5, vcc
	ds_write_b64 v0, v[4:5] offset:872
.LBB4_574:                              ;   in Loop: Header=BB4_547 Depth=3
	s_or_b64 exec, exec, s[28:29]
	v_mov_b32_e32 v51, v3
	v_mov_b32_e32 v50, v2
.LBB4_575:                              ;   in Loop: Header=BB4_547 Depth=3
	s_or_b64 exec, exec, s[40:41]
	s_and_saveexec_b64 s[28:29], s[12:13]
	s_cbranch_execz .LBB4_594
; %bb.576:                              ;   in Loop: Header=BB4_547 Depth=3
	s_and_saveexec_b64 s[40:41], s[58:59]
	s_xor_b64 s[40:41], exec, s[40:41]
	s_cbranch_execz .LBB4_591
; %bb.577:                              ;   in Loop: Header=BB4_547 Depth=3
	s_and_saveexec_b64 s[42:43], s[6:7]
	s_cbranch_execz .LBB4_590
; %bb.578:                              ;   in Loop: Header=BB4_547 Depth=3
	s_mov_b64 s[90:91], exec
	v_mbcnt_lo_u32_b32 v0, s90, 0
	v_mbcnt_hi_u32_b32 v0, s91, v0
	v_cmp_eq_u32_e32 vcc, 0, v0
	s_waitcnt vmcnt(0) lgkmcnt(0)
	buffer_wbinvl1_vol
	s_and_saveexec_b64 s[88:89], vcc
	s_cbranch_execz .LBB4_580
; %bb.579:                              ;   in Loop: Header=BB4_547 Depth=3
	s_bcnt1_i32_b64 s90, s[90:91]
	v_mov_b32_e32 v34, s90
	ds_add_u64 v0, v[34:35]
	s_trap 2
.LBB4_580:                              ;   in Loop: Header=BB4_547 Depth=3
	s_or_b64 exec, exec, s[88:89]
	s_trap 2
	ds_read_b64 v[2:3], v0
	s_waitcnt lgkmcnt(0)
	v_add_co_u32_e32 v14, vcc, v14, v20
	v_addc_co_u32_e32 v15, vcc, 0, v15, vcc
	v_cmp_lt_u64_e32 vcc, v[2:3], v[14:15]
	s_and_saveexec_b64 s[88:89], vcc
	s_cbranch_execz .LBB4_589
; %bb.581:                              ;   in Loop: Header=BB4_547 Depth=3
	s_mov_b32 s36, 0
	s_mov_b64 s[90:91], 0
                                        ; implicit-def: $sgpr92_sgpr93
                                        ; implicit-def: $sgpr94_sgpr95
	s_branch .LBB4_583
.LBB4_582:                              ;   in Loop: Header=BB4_583 Depth=4
	s_or_b64 exec, exec, s[34:35]
	s_and_b64 vcc, exec, vcc
	s_or_b64 s[90:91], vcc, s[90:91]
	s_andn2_b64 s[92:93], s[92:93], exec
	s_and_b64 vcc, s[94:95], exec
	s_or_b64 s[92:93], s[92:93], vcc
	s_andn2_b64 exec, exec, s[90:91]
	s_cbranch_execz .LBB4_587
.LBB4_583:                              ;   Parent Loop BB4_73 Depth=1
                                        ;     Parent Loop BB4_544 Depth=2
                                        ;       Parent Loop BB4_547 Depth=3
                                        ; =>      This Inner Loop Header: Depth=4
	s_add_i32 s36, s36, 1
	s_cmpk_lg_i32 s36, 0x2710
	s_cselect_b64 s[30:31], -1, 0
	s_and_b64 vcc, exec, s[30:31]
	s_cbranch_vccz .LBB4_585
; %bb.584:                              ;   in Loop: Header=BB4_583 Depth=4
	s_mov_b64 vcc, -1
	s_or_b64 s[94:95], s[94:95], exec
	s_and_saveexec_b64 s[34:35], s[30:31]
	s_cbranch_execz .LBB4_582
	s_branch .LBB4_586
.LBB4_585:                              ;   in Loop: Header=BB4_583 Depth=4
	s_trap 2
	ds_read_b64 v[2:3], v0
	s_andn2_b64 s[30:31], s[30:31], exec
	s_mov_b32 s36, 0
	s_waitcnt lgkmcnt(0)
	flat_load_dword v0, v[2:3] glc
	s_waitcnt vmcnt(0) lgkmcnt(0)
	buffer_wbinvl1_vol
	v_cmp_eq_u32_e32 vcc, 0, v0
	s_and_b64 vcc, vcc, exec
	s_or_b64 s[30:31], s[30:31], vcc
	s_mov_b64 vcc, -1
	s_or_b64 s[94:95], s[94:95], exec
	s_and_saveexec_b64 s[34:35], s[30:31]
	s_cbranch_execz .LBB4_582
.LBB4_586:                              ;   in Loop: Header=BB4_583 Depth=4
	s_sleep 1
	s_trap 2
	ds_read_b64 v[2:3], v0
	s_waitcnt lgkmcnt(0)
	s_andn2_b64 s[94:95], s[94:95], exec
	v_cmp_ge_u64_e32 vcc, v[2:3], v[14:15]
	s_orn2_b64 vcc, vcc, exec
	s_branch .LBB4_582
.LBB4_587:                              ;   in Loop: Header=BB4_547 Depth=3
	s_or_b64 exec, exec, s[90:91]
	s_and_saveexec_b64 s[90:91], s[92:93]
	s_xor_b64 s[90:91], exec, s[90:91]
	s_cbranch_execz .LBB4_589
; %bb.588:                              ;   in Loop: Header=BB4_547 Depth=3
	ds_write_b32 v0, v10
	s_trap 2
.LBB4_589:                              ;   in Loop: Header=BB4_547 Depth=3
	s_or_b64 exec, exec, s[88:89]
	;;#ASMSTART
	s_wakeup
	;;#ASMEND
.LBB4_590:                              ;   in Loop: Header=BB4_547 Depth=3
	s_or_b64 exec, exec, s[42:43]
.LBB4_591:                              ;   in Loop: Header=BB4_547 Depth=3
	s_andn2_saveexec_b64 s[40:41], s[40:41]
	s_cbranch_execz .LBB4_593
; %bb.592:                              ;   in Loop: Header=BB4_547 Depth=3
	s_waitcnt vmcnt(0) lgkmcnt(0)
	buffer_wbinvl1_vol
	s_barrier
.LBB4_593:                              ;   in Loop: Header=BB4_547 Depth=3
	s_or_b64 exec, exec, s[40:41]
.LBB4_594:                              ;   in Loop: Header=BB4_547 Depth=3
	s_or_b64 exec, exec, s[28:29]
	s_trap 2
	ds_read_b32 v2, v0
	v_and_b32_e32 v0, 0x4000, v57
	v_cmp_ne_u32_e32 vcc, 0, v0
	s_xor_b64 s[28:29], s[10:11], -1
	s_and_b64 s[40:41], s[28:29], vcc
	s_and_saveexec_b64 s[28:29], s[40:41]
	s_cbranch_execz .LBB4_613
; %bb.595:                              ;   in Loop: Header=BB4_547 Depth=3
	s_and_saveexec_b64 s[40:41], s[58:59]
	s_xor_b64 s[40:41], exec, s[40:41]
	s_cbranch_execz .LBB4_610
; %bb.596:                              ;   in Loop: Header=BB4_547 Depth=3
	s_and_saveexec_b64 s[42:43], s[6:7]
	s_cbranch_execz .LBB4_609
; %bb.597:                              ;   in Loop: Header=BB4_547 Depth=3
	s_mov_b64 s[90:91], exec
	v_mbcnt_lo_u32_b32 v0, s90, 0
	v_mbcnt_hi_u32_b32 v0, s91, v0
	v_cmp_eq_u32_e32 vcc, 0, v0
	s_waitcnt vmcnt(0) lgkmcnt(0)
	buffer_wbinvl1_vol
	s_and_saveexec_b64 s[88:89], vcc
	s_cbranch_execz .LBB4_599
; %bb.598:                              ;   in Loop: Header=BB4_547 Depth=3
	s_bcnt1_i32_b64 s90, s[90:91]
	v_mov_b32_e32 v34, s90
	ds_add_u64 v0, v[34:35]
	s_trap 2
.LBB4_599:                              ;   in Loop: Header=BB4_547 Depth=3
	s_or_b64 exec, exec, s[88:89]
	s_trap 2
	ds_read_b64 v[3:4], v0
	s_waitcnt lgkmcnt(0)
	v_add_co_u32_e32 v14, vcc, v14, v20
	v_addc_co_u32_e32 v15, vcc, 0, v15, vcc
	v_cmp_lt_u64_e32 vcc, v[3:4], v[14:15]
	s_and_saveexec_b64 s[88:89], vcc
	s_cbranch_execz .LBB4_608
; %bb.600:                              ;   in Loop: Header=BB4_547 Depth=3
	s_mov_b32 s36, 0
	s_mov_b64 s[90:91], 0
                                        ; implicit-def: $sgpr92_sgpr93
                                        ; implicit-def: $sgpr94_sgpr95
	s_branch .LBB4_602
.LBB4_601:                              ;   in Loop: Header=BB4_602 Depth=4
	s_or_b64 exec, exec, s[34:35]
	s_and_b64 vcc, exec, vcc
	s_or_b64 s[90:91], vcc, s[90:91]
	s_andn2_b64 s[92:93], s[92:93], exec
	s_and_b64 vcc, s[94:95], exec
	s_or_b64 s[92:93], s[92:93], vcc
	s_andn2_b64 exec, exec, s[90:91]
	s_cbranch_execz .LBB4_606
.LBB4_602:                              ;   Parent Loop BB4_73 Depth=1
                                        ;     Parent Loop BB4_544 Depth=2
                                        ;       Parent Loop BB4_547 Depth=3
                                        ; =>      This Inner Loop Header: Depth=4
	s_add_i32 s36, s36, 1
	s_cmpk_lg_i32 s36, 0x2710
	s_cselect_b64 s[30:31], -1, 0
	s_and_b64 vcc, exec, s[30:31]
	s_cbranch_vccz .LBB4_604
; %bb.603:                              ;   in Loop: Header=BB4_602 Depth=4
	s_mov_b64 vcc, -1
	s_or_b64 s[94:95], s[94:95], exec
	s_and_saveexec_b64 s[34:35], s[30:31]
	s_cbranch_execz .LBB4_601
	s_branch .LBB4_605
.LBB4_604:                              ;   in Loop: Header=BB4_602 Depth=4
	s_trap 2
	ds_read_b64 v[3:4], v0
	s_andn2_b64 s[30:31], s[30:31], exec
	s_mov_b32 s36, 0
	s_waitcnt lgkmcnt(0)
	flat_load_dword v0, v[3:4] glc
	s_waitcnt vmcnt(0) lgkmcnt(0)
	buffer_wbinvl1_vol
	v_cmp_eq_u32_e32 vcc, 0, v0
	s_and_b64 vcc, vcc, exec
	s_or_b64 s[30:31], s[30:31], vcc
	s_mov_b64 vcc, -1
	s_or_b64 s[94:95], s[94:95], exec
	s_and_saveexec_b64 s[34:35], s[30:31]
	s_cbranch_execz .LBB4_601
.LBB4_605:                              ;   in Loop: Header=BB4_602 Depth=4
	s_sleep 1
	s_trap 2
	ds_read_b64 v[3:4], v0
	s_waitcnt lgkmcnt(0)
	s_andn2_b64 s[94:95], s[94:95], exec
	v_cmp_ge_u64_e32 vcc, v[3:4], v[14:15]
	s_orn2_b64 vcc, vcc, exec
	s_branch .LBB4_601
.LBB4_606:                              ;   in Loop: Header=BB4_547 Depth=3
	s_or_b64 exec, exec, s[90:91]
	s_and_saveexec_b64 s[90:91], s[92:93]
	s_xor_b64 s[90:91], exec, s[90:91]
	s_cbranch_execz .LBB4_608
; %bb.607:                              ;   in Loop: Header=BB4_547 Depth=3
	ds_write_b32 v0, v10
	s_trap 2
.LBB4_608:                              ;   in Loop: Header=BB4_547 Depth=3
	s_or_b64 exec, exec, s[88:89]
	;;#ASMSTART
	s_wakeup
	;;#ASMEND
.LBB4_609:                              ;   in Loop: Header=BB4_547 Depth=3
	s_or_b64 exec, exec, s[42:43]
.LBB4_610:                              ;   in Loop: Header=BB4_547 Depth=3
	s_andn2_saveexec_b64 s[40:41], s[40:41]
	s_cbranch_execz .LBB4_612
; %bb.611:                              ;   in Loop: Header=BB4_547 Depth=3
	s_waitcnt vmcnt(0) lgkmcnt(0)
	buffer_wbinvl1_vol
	s_barrier
.LBB4_612:                              ;   in Loop: Header=BB4_547 Depth=3
	s_or_b64 exec, exec, s[40:41]
.LBB4_613:                              ;   in Loop: Header=BB4_547 Depth=3
	s_or_b64 exec, exec, s[28:29]
	s_trap 2
	ds_read_b64 v[42:43], v0
	s_waitcnt lgkmcnt(0)
	v_cmp_eq_u64_e32 vcc, 0, v[42:43]
	s_cbranch_vccnz .LBB4_622
; %bb.614:                              ;   in Loop: Header=BB4_547 Depth=3
	s_trap 2
	ds_read_b64 v[44:45], v0
	s_waitcnt lgkmcnt(0)
	v_cmp_eq_u64_e32 vcc, 0, v[44:45]
	s_cbranch_vccnz .LBB4_622
; %bb.615:                              ;   in Loop: Header=BB4_547 Depth=3
	s_trap 2
	ds_read_b64 v[46:47], v0
	v_cmp_eq_u32_e64 s[28:29], 0, v2
	v_cndmask_b32_e64 v34, 0, v54, s[28:29]
	s_mov_b64 s[28:29], -1
	s_waitcnt lgkmcnt(0)
	v_cmp_ne_u64_e32 vcc, 0, v[46:47]
	s_cbranch_vccz .LBB4_651
; %bb.616:                              ;   in Loop: Header=BB4_547 Depth=3
	s_and_saveexec_b64 s[40:41], s[24:25]
	s_cbranch_execz .LBB4_618
; %bb.617:                              ;   in Loop: Header=BB4_547 Depth=3
	ds_read_b32 v0, v0 offset:720
	s_waitcnt lgkmcnt(0)
	v_and_b32_e32 v0, 15, v0
	v_cmp_eq_u32_e32 vcc, 0, v0
	s_orn2_b64 s[28:29], vcc, exec
.LBB4_618:                              ;   in Loop: Header=BB4_547 Depth=3
	s_or_b64 exec, exec, s[40:41]
	s_and_saveexec_b64 s[40:41], s[16:17]
	s_cbranch_execz .LBB4_620
; %bb.619:                              ;   in Loop: Header=BB4_547 Depth=3
	ds_read_b32 v0, v0 offset:784
	s_waitcnt lgkmcnt(0)
	v_and_b32_e32 v0, 15, v0
	v_cmp_eq_u32_e32 vcc, 0, v0
	s_and_b64 s[42:43], s[28:29], vcc
	s_andn2_b64 s[28:29], s[28:29], exec
	s_and_b64 s[42:43], s[42:43], exec
	s_or_b64 s[28:29], s[28:29], s[42:43]
.LBB4_620:                              ;   in Loop: Header=BB4_547 Depth=3
	s_or_b64 exec, exec, s[40:41]
	s_xor_b64 s[28:29], s[28:29], -1
	v_cndmask_b32_e64 v0, 0, 1, s[28:29]
	s_mov_b64 s[40:41], -1
	v_mov_b32_e32 v55, 0
	v_cmp_ne_u32_e32 vcc, 0, v0
	v_mov_b32_e32 v56, v34
	s_waitcnt vmcnt(0)
	v_mov_b32_e32 v48, v62
	v_mov_b32_e32 v0, v58
	s_cbranch_vccz .LBB4_623
; %bb.621:                              ;   in Loop: Header=BB4_547 Depth=3
	s_and_saveexec_b64 s[42:43], s[40:41]
	s_cbranch_execnz .LBB4_640
	s_branch .LBB4_650
.LBB4_622:                              ;   in Loop: Header=BB4_547 Depth=3
	s_mov_b64 s[28:29], 0
	s_and_saveexec_b64 s[40:41], s[12:13]
	s_cbranch_execnz .LBB4_681
	s_branch .LBB4_699
.LBB4_623:                              ;   in Loop: Header=BB4_547 Depth=3
	buffer_load_dword v0, off, s[0:3], s33 offset:64 ; 4-byte Folded Reload
	s_waitcnt vmcnt(0)
	v_sub_u32_e32 v36, v34, v0
	v_ashrrev_i32_e32 v0, 31, v34
	v_lshrrev_b32_e32 v0, 22, v0
	v_add_u32_e32 v0, v34, v0
	v_ashrrev_i32_e32 v2, 10, v0
	v_and_b32_e32 v23, 0xfffffc00, v0
	buffer_load_dword v0, off, s[0:3], s33 offset:68 ; 4-byte Folded Reload
	v_sub_u32_e32 v49, v34, v23
	v_cmp_lt_i32_e64 s[28:29], 15, v49
	s_waitcnt vmcnt(0)
	v_addc_co_u32_e64 v30, vcc, v2, v0, s[28:29]
	v_cmp_lt_i32_e32 vcc, 15, v36
	s_and_saveexec_b64 s[88:89], vcc
	s_cbranch_execz .LBB4_629
; %bb.624:                              ;   in Loop: Header=BB4_547 Depth=3
	buffer_load_dword v0, off, s[0:3], s33 offset:64 ; 4-byte Folded Reload
	buffer_load_dword v2, off, s[0:3], s33 offset:84 ; 4-byte Folded Reload
	s_mov_b64 s[90:91], 0
	s_waitcnt vmcnt(1)
	v_add_co_u32_e32 v55, vcc, v42, v0
	s_waitcnt vmcnt(0)
	v_addc_co_u32_e32 v56, vcc, v43, v2, vcc
	v_add_co_u32_e32 v48, vcc, v44, v0
	v_addc_co_u32_e32 v52, vcc, v45, v2, vcc
	v_add_co_u32_e32 v38, vcc, v46, v0
	v_addc_co_u32_e32 v0, vcc, v47, v2, vcc
.LBB4_625:                              ;   Parent Loop BB4_73 Depth=1
                                        ;     Parent Loop BB4_544 Depth=2
                                        ;       Parent Loop BB4_547 Depth=3
                                        ; =>      This Loop Header: Depth=4
                                        ;           Child Loop BB4_626 Depth 5
	global_load_dwordx4 v[2:5], v[55:56], off glc slc
	s_mov_b64 s[92:93], -1
	s_mov_b64 s[94:95], 0
	s_waitcnt vmcnt(0)
.LBB4_626:                              ;   Parent Loop BB4_73 Depth=1
                                        ;     Parent Loop BB4_544 Depth=2
                                        ;       Parent Loop BB4_547 Depth=3
                                        ;         Parent Loop BB4_625 Depth=4
                                        ; =>        This Inner Loop Header: Depth=5
	s_cmp_eq_u32 s94, 1
	s_cselect_b64 s[40:41], -1, 0
	v_cndmask_b32_e64 v8, v52, v0, s[40:41]
	v_cndmask_b32_e64 v7, v48, v38, s[40:41]
	global_store_dwordx4 v[7:8], v[2:5], off glc slc
	v_add_co_u32_e32 v7, vcc, 0x400, v7
	s_cmp_eq_u32 s94, 0
	v_addc_co_u32_e32 v8, vcc, 0, v8, vcc
	s_cselect_b64 vcc, -1, 0
	s_and_b64 s[42:43], exec, s[92:93]
	s_mov_b64 s[94:95], 1
	v_cndmask_b32_e64 v38, v38, v7, s[40:41]
	s_mov_b64 s[92:93], 0
	v_cndmask_b32_e64 v0, v0, v8, s[40:41]
	v_cndmask_b32_e32 v52, v52, v8, vcc
	v_cndmask_b32_e32 v48, v48, v7, vcc
	s_mov_b64 vcc, s[42:43]
	s_cbranch_vccnz .LBB4_626
; %bb.627:                              ;   in Loop: Header=BB4_625 Depth=4
	v_add_co_u32_e32 v48, vcc, v48, v61
	v_addc_co_u32_e32 v52, vcc, v52, v31, vcc
	v_add_co_u32_e32 v38, vcc, v38, v61
	v_addc_co_u32_e32 v0, vcc, v0, v31, vcc
	;; [unrolled: 2-line block ×3, first 2 shown]
	v_sub_u32_e32 v36, v36, v37
	v_cmp_gt_i32_e32 vcc, 16, v36
	s_or_b64 s[90:91], vcc, s[90:91]
	v_sub_u32_e32 v30, v30, v20
	s_andn2_b64 exec, exec, s[90:91]
	s_cbranch_execnz .LBB4_625
; %bb.628:                              ;   in Loop: Header=BB4_547 Depth=3
	s_or_b64 exec, exec, s[90:91]
	v_mov_b32_e32 v52, 0xd0
	v_mov_b32_e32 v38, 0x88
.LBB4_629:                              ;   in Loop: Header=BB4_547 Depth=3
	s_or_b64 exec, exec, s[88:89]
	v_and_b32_e32 v2, 15, v34
	v_cndmask_b32_e64 v36, v49, v2, s[28:29]
	v_mov_b32_e32 v55, 0
	v_cmp_ne_u32_e32 vcc, 0, v36
	s_mov_b64 s[40:41], 0
                                        ; implicit-def: $vgpr56
                                        ; implicit-def: $vgpr48
                                        ; implicit-def: $vgpr0
	s_and_saveexec_b64 s[88:89], vcc
	s_cbranch_execz .LBB4_639
; %bb.630:                              ;   in Loop: Header=BB4_547 Depth=3
	v_sub_u32_e32 v0, v49, v2
	buffer_load_dword v2, off, s[0:3], s33 offset:72 ; 4-byte Folded Reload
	v_cndmask_b32_e64 v0, 0, v0, s[28:29]
	v_cmp_lt_i32_e32 vcc, 0, v30
	v_add_u32_e32 v49, v0, v23
	v_cndmask_b32_e32 v0, 0, v20, vcc
	v_sub_u32_e32 v0, v0, v30
	s_waitcnt vmcnt(0)
	v_lshl_add_u32 v0, v0, 6, v2
	v_ashrrev_i32_e32 v2, 31, v0
	v_lshrrev_b32_e32 v2, 26, v2
	v_add_u32_e32 v2, v0, v2
	v_ashrrev_i32_e32 v3, 6, v2
	v_and_b32_e32 v2, 0xffffffc0, v2
	v_sub_u32_e32 v58, v0, v2
	v_ashrrev_i32_e32 v2, 31, v36
	v_lshrrev_b32_e32 v2, 22, v2
	v_add_u32_e32 v2, v36, v2
	v_and_b32_e32 v30, 0xfffffc00, v2
	v_lshlrev_b32_e32 v0, 4, v58
	v_sub_u32_e32 v52, v36, v30
	v_lshl_add_u32 v0, v3, 10, v0
	v_ashrrev_i32_e32 v4, 10, v2
	v_cmp_lt_i32_e64 s[28:29], 15, v52
	v_sub_u32_e32 v48, v36, v0
	v_addc_co_u32_e64 v2, vcc, 0, v4, s[28:29]
	v_sub_u32_e32 v23, v2, v3
	v_cmp_lt_i32_e32 vcc, 15, v48
	s_and_saveexec_b64 s[90:91], vcc
	s_cbranch_execz .LBB4_636
; %bb.631:                              ;   in Loop: Header=BB4_547 Depth=3
	v_add_u32_e32 v0, v0, v49
	v_ashrrev_i32_e32 v2, 31, v0
	v_add_co_u32_e32 v55, vcc, v0, v42
	v_addc_co_u32_e32 v56, vcc, v2, v43, vcc
	v_add_co_u32_e32 v53, vcc, v0, v44
	v_addc_co_u32_e32 v62, vcc, v2, v45, vcc
	;; [unrolled: 2-line block ×3, first 2 shown]
	s_mov_b64 s[92:93], 0
.LBB4_632:                              ;   Parent Loop BB4_73 Depth=1
                                        ;     Parent Loop BB4_544 Depth=2
                                        ;       Parent Loop BB4_547 Depth=3
                                        ; =>      This Loop Header: Depth=4
                                        ;           Child Loop BB4_633 Depth 5
	global_load_dwordx4 v[2:5], v[55:56], off glc slc
	s_mov_b64 s[94:95], -1
	s_mov_b64 s[30:31], 0
	s_waitcnt vmcnt(0)
.LBB4_633:                              ;   Parent Loop BB4_73 Depth=1
                                        ;     Parent Loop BB4_544 Depth=2
                                        ;       Parent Loop BB4_547 Depth=3
                                        ;         Parent Loop BB4_632 Depth=4
                                        ; =>        This Inner Loop Header: Depth=5
	s_cmp_eq_u32 s30, 1
	s_cselect_b64 s[40:41], -1, 0
	v_cndmask_b32_e64 v8, v62, v0, s[40:41]
	v_cndmask_b32_e64 v7, v53, v38, s[40:41]
	global_store_dwordx4 v[7:8], v[2:5], off glc slc
	v_add_co_u32_e32 v7, vcc, 0x400, v7
	s_cmp_eq_u32 s30, 0
	v_addc_co_u32_e32 v8, vcc, 0, v8, vcc
	s_cselect_b64 vcc, -1, 0
	s_and_b64 s[42:43], exec, s[94:95]
	s_mov_b64 s[30:31], 1
	v_cndmask_b32_e64 v38, v38, v7, s[40:41]
	s_mov_b64 s[94:95], 0
	v_cndmask_b32_e64 v0, v0, v8, s[40:41]
	v_cndmask_b32_e32 v62, v62, v8, vcc
	v_cndmask_b32_e32 v53, v53, v7, vcc
	s_mov_b64 vcc, s[42:43]
	s_cbranch_vccnz .LBB4_633
; %bb.634:                              ;   in Loop: Header=BB4_632 Depth=4
	v_add_co_u32_e32 v53, vcc, v53, v61
	v_addc_co_u32_e32 v62, vcc, v62, v31, vcc
	v_add_co_u32_e32 v38, vcc, v38, v61
	v_addc_co_u32_e32 v0, vcc, v0, v31, vcc
	;; [unrolled: 2-line block ×3, first 2 shown]
	v_sub_u32_e32 v48, v48, v37
	v_cmp_gt_i32_e32 vcc, 16, v48
	s_or_b64 s[92:93], vcc, s[92:93]
	v_sub_u32_e32 v23, v23, v20
	s_andn2_b64 exec, exec, s[92:93]
	s_cbranch_execnz .LBB4_632
; %bb.635:                              ;   in Loop: Header=BB4_547 Depth=3
	s_or_b64 exec, exec, s[92:93]
	buffer_load_dword v62, off, s[0:3], s33 offset:116 ; 4-byte Folded Reload
	v_lshlrev_b32_e32 v53, 11, v20
	v_mov_b32_e32 v38, 0x88
.LBB4_636:                              ;   in Loop: Header=BB4_547 Depth=3
	s_or_b64 exec, exec, s[90:91]
	v_and_b32_e32 v2, 15, v36
	v_cndmask_b32_e64 v56, v52, v2, s[28:29]
	v_mov_b32_e32 v55, 0
	v_cmp_ne_u32_e32 vcc, 0, v56
	s_mov_b64 s[42:43], 0
                                        ; implicit-def: $vgpr48
                                        ; implicit-def: $vgpr0
	s_and_saveexec_b64 s[40:41], vcc
	s_cbranch_execz .LBB4_638
; %bb.637:                              ;   in Loop: Header=BB4_547 Depth=3
	v_sub_u32_e32 v0, v52, v2
	v_cndmask_b32_e64 v0, 0, v0, s[28:29]
	v_cmp_lt_i32_e32 vcc, 0, v23
	v_add3_u32 v55, v30, v49, v0
	v_cndmask_b32_e32 v0, 0, v20, vcc
	v_sub_u32_e32 v0, v0, v23
	v_lshl_add_u32 v48, v0, 6, v58
	v_ashrrev_i32_e32 v0, 31, v48
	v_lshrrev_b32_e32 v0, 26, v0
	v_add_u32_e32 v0, v48, v0
	v_ashrrev_i32_e32 v0, 6, v0
	s_mov_b64 s[42:43], exec
.LBB4_638:                              ;   in Loop: Header=BB4_547 Depth=3
	s_or_b64 exec, exec, s[40:41]
	buffer_load_dword v58, off, s[0:3], s33 offset:60 ; 4-byte Folded Reload
	s_and_b64 s[40:41], s[42:43], exec
	v_mov_b32_e32 v52, 0xd0
.LBB4_639:                              ;   in Loop: Header=BB4_547 Depth=3
	s_or_b64 exec, exec, s[88:89]
	s_and_saveexec_b64 s[42:43], s[40:41]
	s_cbranch_execz .LBB4_650
.LBB4_640:                              ;   in Loop: Header=BB4_547 Depth=3
	v_ashrrev_i32_e32 v2, 31, v56
	v_lshrrev_b32_e32 v2, 23, v2
	v_add_u32_e32 v2, v56, v2
	s_waitcnt vmcnt(0)
	v_ashrrev_i32_e32 v58, 9, v2
	v_sub_u32_e32 v49, v58, v0
	v_ashrrev_i32_e32 v2, 31, v48
	v_cmp_lt_i32_e32 vcc, 0, v49
	v_lshrrev_b32_e32 v36, 26, v2
	s_and_saveexec_b64 s[28:29], vcc
	s_cbranch_execz .LBB4_644
; %bb.641:                              ;   in Loop: Header=BB4_547 Depth=3
	v_add_u32_e32 v2, v48, v36
	v_and_b32_e32 v2, 0xffffffc0, v2
	v_sub_u32_e32 v2, v48, v2
	v_lshlrev_b32_e32 v0, 9, v0
	v_add3_u32 v0, v55, v2, v0
	v_ashrrev_i32_e32 v7, 31, v0
	v_add_co_u32_e32 v2, vcc, v0, v44
	v_addc_co_u32_e32 v3, vcc, v7, v45, vcc
	v_add_co_u32_e32 v4, vcc, v0, v46
	v_addc_co_u32_e32 v5, vcc, v7, v47, vcc
	;; [unrolled: 2-line block ×4, first 2 shown]
	s_mov_b64 s[40:41], 0
.LBB4_642:                              ;   Parent Loop BB4_73 Depth=1
                                        ;     Parent Loop BB4_544 Depth=2
                                        ;       Parent Loop BB4_547 Depth=3
                                        ; =>      This Inner Loop Header: Depth=4
	v_add_co_u32_e32 v7, vcc, 0xfffffe40, v46
	v_addc_co_u32_e32 v8, vcc, -1, v47, vcc
	flat_load_ubyte v23, v[7:8] glc slc
	v_add_co_u32_e32 v7, vcc, 0xfffffe80, v46
	v_addc_co_u32_e32 v8, vcc, -1, v47, vcc
	flat_load_ubyte v0, v[7:8] glc slc
	v_add_co_u32_e32 v7, vcc, 0xfffffec0, v46
	v_addc_co_u32_e32 v8, vcc, -1, v47, vcc
	flat_load_ubyte v9, v[7:8] glc slc
	v_add_co_u32_e32 v7, vcc, 0xffffff00, v46
	v_addc_co_u32_e32 v8, vcc, -1, v47, vcc
	flat_load_ubyte v10, v[7:8] glc slc
	v_add_co_u32_e32 v7, vcc, 0xffffff40, v46
	v_addc_co_u32_e32 v8, vcc, -1, v47, vcc
	flat_load_ubyte v30, v[7:8] glc slc
	v_add_co_u32_e32 v7, vcc, 0xffffff80, v46
	v_addc_co_u32_e32 v8, vcc, -1, v47, vcc
	flat_load_ubyte v38, v[7:8] glc slc
	v_add_co_u32_e32 v7, vcc, s54, v46
	v_addc_co_u32_e32 v8, vcc, -1, v47, vcc
	flat_load_ubyte v7, v[7:8] glc slc
	s_nop 0
	flat_load_ubyte v8, v[46:47] glc slc
	v_sub_u32_e32 v49, v49, v20
	s_waitcnt vmcnt(0) lgkmcnt(0)
	flat_store_byte v[2:3], v23 glc slc
	flat_store_byte v[2:3], v0 offset:64 glc slc
	flat_store_byte v[2:3], v9 offset:128 glc slc
	;; [unrolled: 1-line block ×7, first 2 shown]
	flat_store_byte v[4:5], v23 glc slc
	flat_store_byte v[4:5], v0 offset:64 glc slc
	flat_store_byte v[4:5], v9 offset:128 glc slc
	;; [unrolled: 1-line block ×7, first 2 shown]
	v_add_co_u32_e32 v2, vcc, v2, v19
	v_addc_co_u32_e32 v3, vcc, 0, v3, vcc
	v_add_co_u32_e32 v4, vcc, v4, v19
	v_addc_co_u32_e32 v5, vcc, 0, v5, vcc
	;; [unrolled: 2-line block ×3, first 2 shown]
	v_cmp_gt_i32_e32 vcc, 1, v49
	s_or_b64 s[40:41], vcc, s[40:41]
	s_andn2_b64 exec, exec, s[40:41]
	s_cbranch_execnz .LBB4_642
; %bb.643:                              ;   in Loop: Header=BB4_547 Depth=3
	s_or_b64 exec, exec, s[40:41]
	v_mov_b32_e32 v10, 1
	v_mov_b32_e32 v38, 0x88
.LBB4_644:                              ;   in Loop: Header=BB4_547 Depth=3
	s_or_b64 exec, exec, s[28:29]
	v_lshlrev_b32_e32 v0, 9, v58
	buffer_load_dword v58, off, s[0:3], s33 offset:60 ; 4-byte Folded Reload
	v_cmp_ne_u32_e32 vcc, v56, v0
	s_and_b64 s[28:29], exec, vcc
	s_mov_b64 exec, s[28:29]
	s_cbranch_execz .LBB4_650
; %bb.645:                              ;   in Loop: Header=BB4_547 Depth=3
	v_add_u32_e32 v2, v48, v36
	v_and_b32_e32 v2, 0xffffffc0, v2
	v_sub_u32_e32 v2, v48, v2
	v_lshlrev_b32_e32 v3, 6, v49
	v_sub_u32_e32 v2, v2, v3
	v_add_u32_e32 v0, v0, v2
	v_sub_u32_e32 v4, v56, v0
	v_cmp_lt_i32_e32 vcc, 0, v4
	s_and_b64 exec, exec, vcc
	s_cbranch_execz .LBB4_650
; %bb.646:                              ;   in Loop: Header=BB4_547 Depth=3
	s_trap 2
	ds_read_b64 v[2:3], v0
	ds_read_b128 v[7:10], v0
	v_add_u32_e32 v23, v0, v55
	v_ashrrev_i32_e32 v30, 31, v23
	s_mov_b64 s[88:89], 0
	s_waitcnt lgkmcnt(0)
	v_add_co_u32_e32 v2, vcc, v2, v23
	v_addc_co_u32_e32 v3, vcc, v3, v30, vcc
	v_add_co_u32_e32 v0, vcc, v7, v23
	v_addc_co_u32_e32 v5, vcc, v8, v30, vcc
	;; [unrolled: 2-line block ×3, first 2 shown]
	v_mov_b32_e32 v10, 1
.LBB4_647:                              ;   Parent Loop BB4_73 Depth=1
                                        ;     Parent Loop BB4_544 Depth=2
                                        ;       Parent Loop BB4_547 Depth=3
                                        ; =>      This Loop Header: Depth=4
                                        ;           Child Loop BB4_648 Depth 5
	flat_load_ubyte v36, v[2:3] glc slc
	s_mov_b64 s[90:91], -1
	s_mov_b64 s[92:93], 0
	s_waitcnt vmcnt(0)
.LBB4_648:                              ;   Parent Loop BB4_73 Depth=1
                                        ;     Parent Loop BB4_544 Depth=2
                                        ;       Parent Loop BB4_547 Depth=3
                                        ;         Parent Loop BB4_647 Depth=4
                                        ; =>        This Inner Loop Header: Depth=5
	s_cmp_eq_u32 s92, 1
	s_cselect_b64 vcc, -1, 0
	v_cndmask_b32_e32 v8, v5, v30, vcc
	v_cndmask_b32_e32 v7, v0, v23, vcc
	s_waitcnt lgkmcnt(0)
	flat_store_byte v[7:8], v36 glc slc
	v_add_co_u32_e64 v7, s[28:29], 64, v7
	s_cmp_eq_u32 s92, 0
	v_addc_co_u32_e64 v8, s[28:29], 0, v8, s[28:29]
	s_cselect_b64 s[28:29], -1, 0
	s_and_b64 s[40:41], exec, s[90:91]
	s_mov_b64 s[92:93], 1
	s_mov_b64 s[90:91], 0
	v_cndmask_b32_e32 v30, v30, v8, vcc
	v_cndmask_b32_e32 v23, v23, v7, vcc
	v_cndmask_b32_e64 v5, v5, v8, s[28:29]
	v_cndmask_b32_e64 v0, v0, v7, s[28:29]
	s_mov_b64 vcc, s[40:41]
	s_cbranch_vccnz .LBB4_648
; %bb.649:                              ;   in Loop: Header=BB4_647 Depth=4
	v_add_co_u32_e32 v0, vcc, v0, v21
	v_addc_co_u32_e32 v5, vcc, v5, v59, vcc
	v_add_co_u32_e32 v23, vcc, v23, v21
	v_addc_co_u32_e32 v30, vcc, v30, v59, vcc
	v_sub_u32_e32 v4, v4, v16
	v_cmp_gt_i32_e32 vcc, 1, v4
	s_or_b64 s[88:89], vcc, s[88:89]
	v_add_co_u32_e32 v2, vcc, v11, v2
	v_addc_co_u32_e32 v3, vcc, v6, v3, vcc
	s_andn2_b64 exec, exec, s[88:89]
	s_cbranch_execnz .LBB4_647
.LBB4_650:                              ;   in Loop: Header=BB4_547 Depth=3
	s_or_b64 exec, exec, s[42:43]
	s_mov_b64 s[28:29], 0
.LBB4_651:                              ;   in Loop: Header=BB4_547 Depth=3
	s_and_b64 vcc, exec, s[28:29]
	s_cbranch_vccz .LBB4_680
; %bb.652:                              ;   in Loop: Header=BB4_547 Depth=3
	s_mov_b64 s[28:29], -1
	s_and_saveexec_b64 s[40:41], s[24:25]
	s_cbranch_execz .LBB4_654
; %bb.653:                              ;   in Loop: Header=BB4_547 Depth=3
	ds_read_b32 v0, v0 offset:720
	s_waitcnt lgkmcnt(0)
	v_and_b32_e32 v0, 15, v0
	v_cmp_eq_u32_e32 vcc, 0, v0
	s_orn2_b64 s[28:29], vcc, exec
.LBB4_654:                              ;   in Loop: Header=BB4_547 Depth=3
	s_or_b64 exec, exec, s[40:41]
	s_and_saveexec_b64 s[40:41], s[14:15]
	s_cbranch_execz .LBB4_656
; %bb.655:                              ;   in Loop: Header=BB4_547 Depth=3
	ds_read_b32 v0, v0 offset:784
	s_waitcnt lgkmcnt(0)
	v_and_b32_e32 v0, 15, v0
	v_cmp_eq_u32_e32 vcc, 0, v0
	s_and_b64 s[42:43], s[28:29], vcc
	s_andn2_b64 s[28:29], s[28:29], exec
	s_and_b64 s[42:43], s[42:43], exec
	s_or_b64 s[28:29], s[28:29], s[42:43]
.LBB4_656:                              ;   in Loop: Header=BB4_547 Depth=3
	s_or_b64 exec, exec, s[40:41]
	s_xor_b64 s[28:29], s[28:29], -1
	v_cndmask_b32_e64 v0, 0, 1, s[28:29]
	s_mov_b64 s[42:43], -1
	v_mov_b32_e32 v2, 0
	v_cmp_ne_u32_e32 vcc, 0, v0
	v_mov_b32_e32 v3, v34
	s_waitcnt vmcnt(0)
	v_mov_b32_e32 v4, v62
	v_mov_b32_e32 v5, v58
	s_cbranch_vccz .LBB4_658
; %bb.657:                              ;   in Loop: Header=BB4_547 Depth=3
	s_and_saveexec_b64 s[28:29], s[42:43]
	s_cbranch_execnz .LBB4_671
	s_branch .LBB4_679
.LBB4_658:                              ;   in Loop: Header=BB4_547 Depth=3
	v_ashrrev_i32_e32 v0, 31, v34
	v_lshrrev_b32_e32 v0, 21, v0
	v_add_u32_e32 v0, v34, v0
	v_ashrrev_i32_e32 v0, 11, v0
	v_sub_u32_e32 v23, v0, v58
	v_cmp_lt_i32_e32 vcc, 0, v23
	s_and_saveexec_b64 s[28:29], vcc
	s_cbranch_execz .LBB4_662
; %bb.659:                              ;   in Loop: Header=BB4_547 Depth=3
	buffer_load_dword v2, off, s[0:3], s33 offset:88 ; 4-byte Folded Reload
	buffer_load_dword v3, off, s[0:3], s33 offset:92 ; 4-byte Folded Reload
	s_mov_b64 s[40:41], 0
.LBB4_660:                              ;   Parent Loop BB4_73 Depth=1
                                        ;     Parent Loop BB4_544 Depth=2
                                        ;       Parent Loop BB4_547 Depth=3
                                        ; =>      This Inner Loop Header: Depth=4
	s_waitcnt vmcnt(0)
	v_add_co_u32_e32 v4, vcc, v42, v2
	v_addc_co_u32_e32 v5, vcc, v43, v3, vcc
	global_load_dwordx4 v[46:49], v[4:5], off glc slc
	global_load_dwordx4 v[7:10], v[4:5], off offset:1024 glc slc
	v_add_co_u32_e32 v4, vcc, v44, v2
	v_addc_co_u32_e32 v5, vcc, v45, v3, vcc
	v_add_co_u32_e32 v2, vcc, v2, v53
	v_sub_u32_e32 v23, v23, v20
	v_addc_co_u32_e32 v3, vcc, 0, v3, vcc
	v_cmp_gt_i32_e32 vcc, 1, v23
	s_or_b64 s[40:41], vcc, s[40:41]
	s_waitcnt vmcnt(0)
	global_store_dwordx4 v[4:5], v[46:49], off glc slc
	global_store_dwordx4 v[4:5], v[7:10], off offset:1024 glc slc
	s_andn2_b64 exec, exec, s[40:41]
	s_cbranch_execnz .LBB4_660
; %bb.661:                              ;   in Loop: Header=BB4_547 Depth=3
	s_or_b64 exec, exec, s[40:41]
	v_mov_b32_e32 v10, 1
.LBB4_662:                              ;   in Loop: Header=BB4_547 Depth=3
	s_or_b64 exec, exec, s[28:29]
	v_lshlrev_b32_e32 v0, 11, v0
	v_cmp_ne_u32_e32 vcc, v34, v0
	s_mov_b64 s[42:43], 0
	v_mov_b32_e32 v2, 0
                                        ; implicit-def: $vgpr3
                                        ; implicit-def: $vgpr4
                                        ; implicit-def: $vgpr5
	s_and_saveexec_b64 s[40:41], vcc
	s_cbranch_execz .LBB4_670
; %bb.663:                              ;   in Loop: Header=BB4_547 Depth=3
	buffer_load_dword v3, off, s[0:3], s33 offset:72 ; 4-byte Folded Reload
	v_lshlrev_b32_e32 v2, 6, v23
	v_sub_u32_e32 v4, v34, v0
	v_ashrrev_i32_e32 v7, 31, v4
	v_lshrrev_b32_e32 v7, 22, v7
	v_add_u32_e32 v7, v4, v7
	v_and_b32_e32 v30, 0xfffffc00, v7
	v_sub_u32_e32 v38, v4, v30
	v_ashrrev_i32_e32 v8, 10, v7
	v_cmp_lt_i32_e32 vcc, 15, v38
	s_waitcnt vmcnt(0)
	v_sub_u32_e32 v2, v3, v2
	v_ashrrev_i32_e32 v3, 31, v2
	v_lshrrev_b32_e32 v3, 26, v3
	v_add_u32_e32 v3, v2, v3
	v_ashrrev_i32_e32 v5, 6, v3
	v_and_b32_e32 v3, 0xffffffc0, v3
	v_sub_u32_e32 v23, v2, v3
	v_lshlrev_b32_e32 v2, 4, v23
	v_lshl_add_u32 v3, v5, 10, v2
	v_sub_u32_e32 v2, v4, v3
	v_addc_co_u32_e64 v4, s[28:29], 0, v8, vcc
	v_sub_u32_e32 v36, v4, v5
	v_cmp_lt_i32_e64 s[28:29], 15, v2
	s_and_saveexec_b64 s[42:43], s[28:29]
	s_cbranch_execz .LBB4_667
; %bb.664:                              ;   in Loop: Header=BB4_547 Depth=3
	v_add_u32_e32 v3, v3, v0
	v_ashrrev_i32_e32 v4, 31, v3
	s_mov_b64 s[88:89], 0
.LBB4_665:                              ;   Parent Loop BB4_73 Depth=1
                                        ;     Parent Loop BB4_544 Depth=2
                                        ;       Parent Loop BB4_547 Depth=3
                                        ; =>      This Inner Loop Header: Depth=4
	v_add_co_u32_e64 v7, s[28:29], v42, v3
	v_addc_co_u32_e64 v8, s[28:29], v43, v4, s[28:29]
	global_load_dwordx4 v[7:10], v[7:8], off glc slc
	v_add_co_u32_e64 v48, s[28:29], v44, v3
	v_addc_co_u32_e64 v49, s[28:29], v45, v4, s[28:29]
	v_add_co_u32_e64 v3, s[28:29], v3, v1
	v_sub_u32_e32 v2, v2, v37
	v_addc_co_u32_e64 v4, s[28:29], v4, v18, s[28:29]
	v_cmp_gt_i32_e64 s[28:29], 16, v2
	v_sub_u32_e32 v36, v36, v20
	s_or_b64 s[88:89], s[28:29], s[88:89]
	s_waitcnt vmcnt(0)
	global_store_dwordx4 v[48:49], v[7:10], off glc slc
	s_andn2_b64 exec, exec, s[88:89]
	s_cbranch_execnz .LBB4_665
; %bb.666:                              ;   in Loop: Header=BB4_547 Depth=3
	s_or_b64 exec, exec, s[88:89]
	v_mov_b32_e32 v10, 1
.LBB4_667:                              ;   in Loop: Header=BB4_547 Depth=3
	s_or_b64 exec, exec, s[42:43]
	v_and_b32_e32 v48, 15, v34
	v_cndmask_b32_e32 v3, v38, v48, vcc
	v_mov_b32_e32 v2, 0
	v_cmp_ne_u32_e64 s[28:29], 0, v3
	s_mov_b64 s[88:89], 0
                                        ; implicit-def: $vgpr4
                                        ; implicit-def: $vgpr5
	s_and_saveexec_b64 s[42:43], s[28:29]
	s_cbranch_execz .LBB4_669
; %bb.668:                              ;   in Loop: Header=BB4_547 Depth=3
	v_sub_u32_e32 v2, v38, v48
	v_cndmask_b32_e32 v2, 0, v2, vcc
	v_cmp_lt_i32_e32 vcc, 0, v36
	v_add3_u32 v2, v30, v0, v2
	v_cndmask_b32_e32 v0, 0, v20, vcc
	v_sub_u32_e32 v0, v0, v36
	v_lshl_add_u32 v4, v0, 6, v23
	v_ashrrev_i32_e32 v0, 31, v4
	v_lshrrev_b32_e32 v0, 26, v0
	v_add_u32_e32 v0, v4, v0
	v_ashrrev_i32_e32 v5, 6, v0
	s_mov_b64 s[88:89], exec
.LBB4_669:                              ;   in Loop: Header=BB4_547 Depth=3
	s_or_b64 exec, exec, s[42:43]
	s_and_b64 s[42:43], s[88:89], exec
	v_mov_b32_e32 v38, 0x88
.LBB4_670:                              ;   in Loop: Header=BB4_547 Depth=3
	s_or_b64 exec, exec, s[40:41]
	s_and_saveexec_b64 s[28:29], s[42:43]
	s_cbranch_execz .LBB4_679
.LBB4_671:                              ;   in Loop: Header=BB4_547 Depth=3
	v_ashrrev_i32_e32 v0, 31, v3
	v_lshrrev_b32_e32 v0, 23, v0
	v_add_u32_e32 v0, v3, v0
	v_ashrrev_i32_e32 v30, 9, v0
	v_sub_u32_e32 v0, v30, v5
	v_ashrrev_i32_e32 v7, 31, v4
	v_cmp_lt_i32_e32 vcc, 0, v0
	v_lshrrev_b32_e32 v23, 26, v7
	s_and_saveexec_b64 s[40:41], vcc
	s_cbranch_execz .LBB4_675
; %bb.672:                              ;   in Loop: Header=BB4_547 Depth=3
	v_add_u32_e32 v7, v4, v23
	v_and_b32_e32 v7, 0xffffffc0, v7
	v_sub_u32_e32 v7, v4, v7
	v_lshlrev_b32_e32 v5, 9, v5
	v_add3_u32 v5, v2, v7, v5
	v_ashrrev_i32_e32 v36, 31, v5
	s_mov_b64 s[42:43], 0
.LBB4_673:                              ;   Parent Loop BB4_73 Depth=1
                                        ;     Parent Loop BB4_544 Depth=2
                                        ;       Parent Loop BB4_547 Depth=3
                                        ; =>      This Inner Loop Header: Depth=4
	v_add_co_u32_e32 v7, vcc, v5, v42
	v_addc_co_u32_e32 v8, vcc, v36, v43, vcc
	flat_load_ubyte v9, v[7:8] glc slc
	flat_load_ubyte v10, v[7:8] offset:64 glc slc
	flat_load_ubyte v38, v[7:8] offset:128 glc slc
	;; [unrolled: 1-line block ×7, first 2 shown]
	v_add_co_u32_e32 v7, vcc, v5, v44
	v_addc_co_u32_e32 v8, vcc, v36, v45, vcc
	v_add_co_u32_e32 v42, vcc, v42, v19
	v_addc_co_u32_e32 v43, vcc, 0, v43, vcc
	v_add_co_u32_e32 v44, vcc, v44, v19
	v_sub_u32_e32 v0, v0, v20
	v_addc_co_u32_e32 v45, vcc, 0, v45, vcc
	v_cmp_gt_i32_e32 vcc, 1, v0
	s_or_b64 s[42:43], vcc, s[42:43]
	s_waitcnt vmcnt(0) lgkmcnt(0)
	flat_store_byte v[7:8], v9 glc slc
	flat_store_byte v[7:8], v10 offset:64 glc slc
	flat_store_byte v[7:8], v38 offset:128 glc slc
	;; [unrolled: 1-line block ×7, first 2 shown]
	s_andn2_b64 exec, exec, s[42:43]
	s_cbranch_execnz .LBB4_673
; %bb.674:                              ;   in Loop: Header=BB4_547 Depth=3
	s_or_b64 exec, exec, s[42:43]
	v_ashrrev_i32_e32 v39, 31, v60
	v_lshlrev_b32_e32 v53, 11, v20
	v_mov_b32_e32 v10, 1
	v_mov_b32_e32 v52, 0xd0
	;; [unrolled: 1-line block ×3, first 2 shown]
.LBB4_675:                              ;   in Loop: Header=BB4_547 Depth=3
	s_or_b64 exec, exec, s[40:41]
	v_lshlrev_b32_e32 v5, 9, v30
	v_cmp_ne_u32_e32 vcc, v3, v5
	s_and_b64 exec, exec, vcc
	s_cbranch_execz .LBB4_679
; %bb.676:                              ;   in Loop: Header=BB4_547 Depth=3
	v_add_u32_e32 v7, v4, v23
	v_and_b32_e32 v7, 0xffffffc0, v7
	v_sub_u32_e32 v4, v4, v7
	v_lshlrev_b32_e32 v0, 6, v0
	v_sub_u32_e32 v0, v4, v0
	v_add_u32_e32 v4, v5, v0
	v_sub_u32_e32 v0, v3, v4
	v_cmp_lt_i32_e32 vcc, 0, v0
	s_and_b64 exec, exec, vcc
	s_cbranch_execz .LBB4_679
; %bb.677:                              ;   in Loop: Header=BB4_547 Depth=3
	v_add_u32_e32 v4, v4, v2
	s_trap 2
	ds_read_b64 v[2:3], v0
	v_ashrrev_i32_e32 v5, 31, v4
	s_mov_b64 s[40:41], 0
.LBB4_678:                              ;   Parent Loop BB4_73 Depth=1
                                        ;     Parent Loop BB4_544 Depth=2
                                        ;       Parent Loop BB4_547 Depth=3
                                        ; =>      This Inner Loop Header: Depth=4
	s_waitcnt lgkmcnt(0)
	v_add_co_u32_e32 v7, vcc, v2, v4
	v_addc_co_u32_e32 v8, vcc, v3, v5, vcc
	flat_load_ubyte v9, v[7:8] glc slc
	v_add_co_u32_e32 v4, vcc, v4, v11
	v_sub_u32_e32 v0, v0, v16
	v_addc_co_u32_e32 v5, vcc, v5, v6, vcc
	v_cmp_gt_i32_e32 vcc, 1, v0
	s_or_b64 s[40:41], vcc, s[40:41]
	s_waitcnt vmcnt(0) lgkmcnt(0)
	flat_store_byte v[7:8], v9 glc slc
	s_andn2_b64 exec, exec, s[40:41]
	s_cbranch_execnz .LBB4_678
.LBB4_679:                              ;   in Loop: Header=BB4_547 Depth=3
	s_or_b64 exec, exec, s[28:29]
.LBB4_680:                              ;   in Loop: Header=BB4_547 Depth=3
	v_cmp_lt_i32_e64 s[28:29], 0, v34
	s_and_saveexec_b64 s[40:41], s[12:13]
	s_cbranch_execz .LBB4_699
.LBB4_681:                              ;   in Loop: Header=BB4_547 Depth=3
	s_and_saveexec_b64 s[42:43], s[58:59]
	s_xor_b64 s[42:43], exec, s[42:43]
	s_cbranch_execz .LBB4_696
; %bb.682:                              ;   in Loop: Header=BB4_547 Depth=3
	s_and_saveexec_b64 s[88:89], s[6:7]
	s_cbranch_execz .LBB4_695
; %bb.683:                              ;   in Loop: Header=BB4_547 Depth=3
	s_mov_b64 s[92:93], exec
	v_mbcnt_lo_u32_b32 v0, s92, 0
	v_mbcnt_hi_u32_b32 v0, s93, v0
	v_cmp_eq_u32_e32 vcc, 0, v0
	s_waitcnt vmcnt(0) lgkmcnt(0)
	buffer_wbinvl1_vol
	s_and_saveexec_b64 s[90:91], vcc
	s_cbranch_execz .LBB4_685
; %bb.684:                              ;   in Loop: Header=BB4_547 Depth=3
	s_bcnt1_i32_b64 s92, s[92:93]
	v_mov_b32_e32 v34, s92
	ds_add_u64 v0, v[34:35]
	s_trap 2
.LBB4_685:                              ;   in Loop: Header=BB4_547 Depth=3
	s_or_b64 exec, exec, s[90:91]
	s_trap 2
	ds_read_b64 v[2:3], v0
	s_waitcnt lgkmcnt(0)
	v_add_co_u32_e32 v14, vcc, v14, v20
	v_addc_co_u32_e32 v15, vcc, 0, v15, vcc
	v_cmp_lt_u64_e32 vcc, v[2:3], v[14:15]
	s_and_saveexec_b64 s[90:91], vcc
	s_cbranch_execz .LBB4_694
; %bb.686:                              ;   in Loop: Header=BB4_547 Depth=3
	s_mov_b32 s38, 0
	s_mov_b64 s[92:93], 0
                                        ; implicit-def: $sgpr94_sgpr95
                                        ; implicit-def: $sgpr30_sgpr31
	s_branch .LBB4_688
.LBB4_687:                              ;   in Loop: Header=BB4_688 Depth=4
	s_or_b64 exec, exec, s[36:37]
	s_and_b64 vcc, exec, vcc
	s_or_b64 s[92:93], vcc, s[92:93]
	s_andn2_b64 s[94:95], s[94:95], exec
	s_and_b64 vcc, s[30:31], exec
	s_or_b64 s[94:95], s[94:95], vcc
	s_andn2_b64 exec, exec, s[92:93]
	s_cbranch_execz .LBB4_692
.LBB4_688:                              ;   Parent Loop BB4_73 Depth=1
                                        ;     Parent Loop BB4_544 Depth=2
                                        ;       Parent Loop BB4_547 Depth=3
                                        ; =>      This Inner Loop Header: Depth=4
	s_add_i32 s38, s38, 1
	s_cmpk_lg_i32 s38, 0x2710
	s_cselect_b64 s[34:35], -1, 0
	s_and_b64 vcc, exec, s[34:35]
	s_cbranch_vccz .LBB4_690
; %bb.689:                              ;   in Loop: Header=BB4_688 Depth=4
	s_mov_b64 vcc, -1
	s_or_b64 s[30:31], s[30:31], exec
	s_and_saveexec_b64 s[36:37], s[34:35]
	s_cbranch_execz .LBB4_687
	s_branch .LBB4_691
.LBB4_690:                              ;   in Loop: Header=BB4_688 Depth=4
	s_trap 2
	ds_read_b64 v[2:3], v0
	s_andn2_b64 s[34:35], s[34:35], exec
	s_mov_b32 s38, 0
	s_waitcnt lgkmcnt(0)
	flat_load_dword v0, v[2:3] glc
	s_waitcnt vmcnt(0) lgkmcnt(0)
	buffer_wbinvl1_vol
	v_cmp_eq_u32_e32 vcc, 0, v0
	s_and_b64 vcc, vcc, exec
	s_or_b64 s[34:35], s[34:35], vcc
	s_mov_b64 vcc, -1
	s_or_b64 s[30:31], s[30:31], exec
	s_and_saveexec_b64 s[36:37], s[34:35]
	s_cbranch_execz .LBB4_687
.LBB4_691:                              ;   in Loop: Header=BB4_688 Depth=4
	s_sleep 1
	s_trap 2
	ds_read_b64 v[2:3], v0
	s_waitcnt lgkmcnt(0)
	s_andn2_b64 s[30:31], s[30:31], exec
	v_cmp_ge_u64_e32 vcc, v[2:3], v[14:15]
	s_orn2_b64 vcc, vcc, exec
	s_branch .LBB4_687
.LBB4_692:                              ;   in Loop: Header=BB4_547 Depth=3
	s_or_b64 exec, exec, s[92:93]
	s_and_saveexec_b64 s[92:93], s[94:95]
	s_xor_b64 s[92:93], exec, s[92:93]
	s_cbranch_execz .LBB4_694
; %bb.693:                              ;   in Loop: Header=BB4_547 Depth=3
	ds_write_b32 v0, v10
	s_trap 2
.LBB4_694:                              ;   in Loop: Header=BB4_547 Depth=3
	s_or_b64 exec, exec, s[90:91]
	;;#ASMSTART
	s_wakeup
	;;#ASMEND
.LBB4_695:                              ;   in Loop: Header=BB4_547 Depth=3
	s_or_b64 exec, exec, s[88:89]
.LBB4_696:                              ;   in Loop: Header=BB4_547 Depth=3
	s_andn2_saveexec_b64 s[42:43], s[42:43]
	s_cbranch_execz .LBB4_698
; %bb.697:                              ;   in Loop: Header=BB4_547 Depth=3
	s_waitcnt vmcnt(0) lgkmcnt(0)
	buffer_wbinvl1_vol
	s_barrier
.LBB4_698:                              ;   in Loop: Header=BB4_547 Depth=3
	s_or_b64 exec, exec, s[42:43]
.LBB4_699:                              ;   in Loop: Header=BB4_547 Depth=3
	s_or_b64 exec, exec, s[40:41]
	v_and_b32_e32 v2, 16, v57
	s_and_saveexec_b64 s[40:41], s[18:19]
	s_xor_b64 s[40:41], exec, s[40:41]
	s_cbranch_execz .LBB4_703
; %bb.700:                              ;   in Loop: Header=BB4_547 Depth=3
	v_and_b32_e32 v0, 16, v57
	v_cmp_ne_u32_e32 vcc, 0, v0
	v_and_b32_e32 v2, 16, v57
	s_and_b64 s[42:43], vcc, s[28:29]
	s_and_saveexec_b64 s[28:29], s[42:43]
	s_cbranch_execz .LBB4_702
; %bb.701:                              ;   in Loop: Header=BB4_547 Depth=3
	v_mov_b32_e32 v2, 1
	s_waitcnt vmcnt(0) lgkmcnt(0)
	buffer_wbinvl1_vol
.LBB4_702:                              ;   in Loop: Header=BB4_547 Depth=3
	s_or_b64 exec, exec, s[28:29]
.LBB4_703:                              ;   in Loop: Header=BB4_547 Depth=3
	s_andn2_saveexec_b64 s[28:29], s[40:41]
	s_cbranch_execz .LBB4_722
; %bb.704:                              ;   in Loop: Header=BB4_547 Depth=3
	s_and_saveexec_b64 s[40:41], s[58:59]
	s_xor_b64 s[40:41], exec, s[40:41]
	s_cbranch_execz .LBB4_719
; %bb.705:                              ;   in Loop: Header=BB4_547 Depth=3
	s_and_saveexec_b64 s[42:43], s[6:7]
	s_cbranch_execz .LBB4_718
; %bb.706:                              ;   in Loop: Header=BB4_547 Depth=3
	s_mov_b64 s[90:91], exec
	v_mbcnt_lo_u32_b32 v0, s90, 0
	v_mbcnt_hi_u32_b32 v0, s91, v0
	v_cmp_eq_u32_e32 vcc, 0, v0
	;;#ASMSTART
	s_waitcnt lgkmcnt(0) vmcnt(0)
	;;#ASMEND
	s_and_saveexec_b64 s[88:89], vcc
	s_cbranch_execz .LBB4_708
; %bb.707:                              ;   in Loop: Header=BB4_547 Depth=3
	s_bcnt1_i32_b64 s90, s[90:91]
	v_mov_b32_e32 v34, s90
	s_waitcnt lgkmcnt(0)
	ds_add_u64 v0, v[34:35]
	s_trap 2
.LBB4_708:                              ;   in Loop: Header=BB4_547 Depth=3
	s_or_b64 exec, exec, s[88:89]
	s_trap 2
	ds_read_b64 v[3:4], v0
	s_waitcnt lgkmcnt(0)
	v_add_co_u32_e32 v14, vcc, v14, v20
	v_addc_co_u32_e32 v15, vcc, 0, v15, vcc
	v_cmp_lt_u64_e32 vcc, v[3:4], v[14:15]
	s_and_saveexec_b64 s[88:89], vcc
	s_cbranch_execz .LBB4_717
; %bb.709:                              ;   in Loop: Header=BB4_547 Depth=3
	s_mov_b32 s36, 0
	s_mov_b64 s[90:91], 0
                                        ; implicit-def: $sgpr92_sgpr93
                                        ; implicit-def: $sgpr94_sgpr95
	s_branch .LBB4_711
.LBB4_710:                              ;   in Loop: Header=BB4_711 Depth=4
	s_or_b64 exec, exec, s[34:35]
	s_and_b64 vcc, exec, vcc
	s_or_b64 s[90:91], vcc, s[90:91]
	s_andn2_b64 s[92:93], s[92:93], exec
	s_and_b64 vcc, s[94:95], exec
	s_or_b64 s[92:93], s[92:93], vcc
	s_andn2_b64 exec, exec, s[90:91]
	s_cbranch_execz .LBB4_715
.LBB4_711:                              ;   Parent Loop BB4_73 Depth=1
                                        ;     Parent Loop BB4_544 Depth=2
                                        ;       Parent Loop BB4_547 Depth=3
                                        ; =>      This Inner Loop Header: Depth=4
	s_add_i32 s36, s36, 1
	s_cmpk_lg_i32 s36, 0x2710
	s_cselect_b64 s[30:31], -1, 0
	s_and_b64 vcc, exec, s[30:31]
	s_cbranch_vccz .LBB4_713
; %bb.712:                              ;   in Loop: Header=BB4_711 Depth=4
	s_mov_b64 vcc, -1
	s_or_b64 s[94:95], s[94:95], exec
	s_and_saveexec_b64 s[34:35], s[30:31]
	s_cbranch_execz .LBB4_710
	s_branch .LBB4_714
.LBB4_713:                              ;   in Loop: Header=BB4_711 Depth=4
	s_trap 2
	ds_read_b64 v[3:4], v0
	s_andn2_b64 s[30:31], s[30:31], exec
	s_mov_b32 s36, 0
	s_waitcnt vmcnt(0) lgkmcnt(0)
	flat_load_dword v0, v[3:4] glc
	s_waitcnt vmcnt(0) lgkmcnt(0)
	buffer_wbinvl1_vol
	v_cmp_eq_u32_e32 vcc, 0, v0
	s_and_b64 vcc, vcc, exec
	s_or_b64 s[30:31], s[30:31], vcc
	s_mov_b64 vcc, -1
	s_or_b64 s[94:95], s[94:95], exec
	s_and_saveexec_b64 s[34:35], s[30:31]
	s_cbranch_execz .LBB4_710
.LBB4_714:                              ;   in Loop: Header=BB4_711 Depth=4
	s_sleep 1
	s_trap 2
	ds_read_b64 v[3:4], v0
	s_waitcnt lgkmcnt(0)
	s_andn2_b64 s[94:95], s[94:95], exec
	v_cmp_ge_u64_e32 vcc, v[3:4], v[14:15]
	s_orn2_b64 vcc, vcc, exec
	s_branch .LBB4_710
.LBB4_715:                              ;   in Loop: Header=BB4_547 Depth=3
	s_or_b64 exec, exec, s[90:91]
	s_and_saveexec_b64 s[90:91], s[92:93]
	s_xor_b64 s[90:91], exec, s[90:91]
	s_cbranch_execz .LBB4_717
; %bb.716:                              ;   in Loop: Header=BB4_547 Depth=3
	ds_write_b32 v0, v10
	s_trap 2
.LBB4_717:                              ;   in Loop: Header=BB4_547 Depth=3
	s_or_b64 exec, exec, s[88:89]
	;;#ASMSTART
	s_wakeup
	;;#ASMEND
.LBB4_718:                              ;   in Loop: Header=BB4_547 Depth=3
	s_or_b64 exec, exec, s[42:43]
.LBB4_719:                              ;   in Loop: Header=BB4_547 Depth=3
	s_andn2_saveexec_b64 s[40:41], s[40:41]
	s_cbranch_execz .LBB4_721
; %bb.720:                              ;   in Loop: Header=BB4_547 Depth=3
	;;#ASMSTART
	s_waitcnt lgkmcnt(0) vmcnt(0)
	;;#ASMEND
	s_waitcnt vmcnt(0) lgkmcnt(0)
	s_barrier
.LBB4_721:                              ;   in Loop: Header=BB4_547 Depth=3
	s_or_b64 exec, exec, s[40:41]
.LBB4_722:                              ;   in Loop: Header=BB4_547 Depth=3
	s_or_b64 exec, exec, s[28:29]
	v_cmp_ne_u32_e32 vcc, 0, v2
	s_xor_b64 s[28:29], s[20:21], -1
	s_and_b64 s[40:41], vcc, s[28:29]
	s_and_saveexec_b64 s[28:29], s[40:41]
	s_cbranch_execz .LBB4_724
; %bb.723:                              ;   in Loop: Header=BB4_547 Depth=3
	flat_store_dword v[28:29], v10
.LBB4_724:                              ;   in Loop: Header=BB4_547 Depth=3
	s_or_b64 exec, exec, s[28:29]
	v_and_b32_e32 v0, 48, v57
	v_cmp_ne_u32_e32 vcc, 0, v0
	s_and_saveexec_b64 s[28:29], vcc
	s_cbranch_execz .LBB4_546
; %bb.725:                              ;   in Loop: Header=BB4_547 Depth=3
	v_add_co_u32_e32 v50, vcc, 2, v50
	v_addc_co_u32_e32 v51, vcc, 0, v51, vcc
	flat_store_dwordx2 v[24:25], v[50:51]
	s_branch .LBB4_546
.LBB4_726:                              ;   in Loop: Header=BB4_544 Depth=2
	s_or_b64 exec, exec, s[74:75]
	v_cmp_gt_i32_e32 vcc, 2, v0
	s_and_saveexec_b64 s[40:41], vcc
	s_cbranch_execz .LBB4_802
.LBB4_727:                              ;   in Loop: Header=BB4_544 Depth=2
	v_cmp_eq_u32_e64 s[74:75], 0, v0
	s_mov_b64 s[42:43], 0
	s_branch .LBB4_729
.LBB4_728:                              ;   in Loop: Header=BB4_729 Depth=3
	s_or_b64 exec, exec, s[28:29]
	v_add_u32_e32 v17, v54, v17
	s_mov_b64 s[74:75], 0
	s_andn2_b64 exec, exec, s[42:43]
	s_cbranch_execz .LBB4_803
.LBB4_729:                              ;   Parent Loop BB4_73 Depth=1
                                        ;     Parent Loop BB4_544 Depth=2
                                        ; =>    This Loop Header: Depth=3
                                        ;         Child Loop BB4_735 Depth 4
                                        ;         Child Loop BB4_763 Depth 4
	;; [unrolled: 1-line block ×3, first 2 shown]
	v_sub_u32_e32 v0, v22, v17
	v_min_i32_e32 v54, v54, v0
	v_and_b32_e32 v0, 12, v57
	v_cmp_ne_u32_e32 vcc, 0, v0
	s_and_saveexec_b64 s[76:77], vcc
	s_cbranch_execz .LBB4_755
; %bb.730:                              ;   in Loop: Header=BB4_729 Depth=3
	v_and_b32_e32 v34, 8, v57
	s_waitcnt vmcnt(0) lgkmcnt(0)
	v_add_co_u32_e32 v4, vcc, v32, v34
	v_addc_co_u32_e32 v5, vcc, 0, v33, vcc
	v_add_co_u32_e32 v2, vcc, 2, v50
	v_addc_co_u32_e32 v3, vcc, 0, v51, vcc
	v_cmp_lt_u64_e32 vcc, v[4:5], v[2:3]
	s_and_saveexec_b64 s[78:79], vcc
	s_cbranch_execz .LBB4_742
; %bb.731:                              ;   in Loop: Header=BB4_729 Depth=3
	v_and_b32_e32 v0, 64, v57
	s_mov_b32 s51, 0
	v_cmp_eq_u32_e32 vcc, 0, v0
	s_mov_b64 s[88:89], 0
                                        ; implicit-def: $sgpr90_sgpr91
                                        ; implicit-def: $sgpr92_sgpr93
                                        ; implicit-def: $sgpr94_sgpr95
	s_branch .LBB4_735
.LBB4_732:                              ;   in Loop: Header=BB4_735 Depth=4
	s_waitcnt vmcnt(0) lgkmcnt(0)
	v_add_co_u32_e64 v4, s[28:29], v32, v34
	v_addc_co_u32_e64 v5, s[28:29], 0, v33, s[28:29]
	v_cmp_ge_u64_e64 s[28:29], v[4:5], v[2:3]
	s_or_b64 s[36:37], s[36:37], exec
	s_orn2_b64 s[34:35], s[28:29], exec
.LBB4_733:                              ;   in Loop: Header=BB4_735 Depth=4
	s_or_b64 exec, exec, s[48:49]
	s_andn2_b64 s[28:29], s[94:95], exec
	s_and_b64 s[94:95], s[36:37], exec
	s_or_b64 s[94:95], s[28:29], s[94:95]
	s_andn2_b64 s[28:29], s[92:93], exec
	s_and_b64 s[92:93], s[34:35], exec
	s_or_b64 s[92:93], s[28:29], s[92:93]
.LBB4_734:                              ;   in Loop: Header=BB4_735 Depth=4
	s_or_b64 exec, exec, s[30:31]
	s_and_b64 s[28:29], exec, s[92:93]
	s_or_b64 s[88:89], s[28:29], s[88:89]
	s_andn2_b64 s[28:29], s[90:91], exec
	s_and_b64 s[90:91], s[94:95], exec
	s_or_b64 s[90:91], s[28:29], s[90:91]
	s_andn2_b64 exec, exec, s[88:89]
	s_cbranch_execz .LBB4_739
.LBB4_735:                              ;   Parent Loop BB4_73 Depth=1
                                        ;     Parent Loop BB4_544 Depth=2
                                        ;       Parent Loop BB4_729 Depth=3
                                        ; =>      This Inner Loop Header: Depth=4
	s_sleep 1
	s_waitcnt vmcnt(0) lgkmcnt(0)
	flat_load_dwordx2 v[32:33], v[24:25] glc
	s_or_b64 s[94:95], s[94:95], exec
	s_or_b64 s[92:93], s[92:93], exec
                                        ; implicit-def: $vgpr0
	s_and_saveexec_b64 s[30:31], vcc
	s_cbranch_execz .LBB4_734
; %bb.736:                              ;   in Loop: Header=BB4_735 Depth=4
	s_cmpk_lt_i32 s51, 0x270f
	s_cselect_b64 s[38:39], -1, 0
	s_cmpk_gt_i32 s51, 0x270e
	s_mov_b64 s[34:35], -1
	s_cbranch_scc0 .LBB4_738
; %bb.737:                              ;   in Loop: Header=BB4_735 Depth=4
	s_trap 2
	ds_read_b64 v[4:5], v0
	s_andn2_b64 s[38:39], s[38:39], exec
	s_mov_b32 s51, 0
	s_mov_b64 s[36:37], 0
	s_waitcnt vmcnt(0) lgkmcnt(0)
	flat_load_dword v0, v[4:5] glc
	s_waitcnt vmcnt(0) lgkmcnt(0)
	buffer_wbinvl1_vol
	v_cmp_eq_u32_e64 s[28:29], 0, v0
	s_and_b64 s[28:29], s[28:29], exec
	s_or_b64 s[38:39], s[38:39], s[28:29]
	s_and_saveexec_b64 s[48:49], s[38:39]
	s_cbranch_execz .LBB4_733
	s_branch .LBB4_732
.LBB4_738:                              ;   in Loop: Header=BB4_735 Depth=4
	s_add_i32 s51, s51, 1
	s_mov_b64 s[36:37], -1
                                        ; implicit-def: $vgpr0
	s_and_saveexec_b64 s[48:49], s[38:39]
	s_cbranch_execz .LBB4_733
	s_branch .LBB4_732
.LBB4_739:                              ;   in Loop: Header=BB4_729 Depth=3
	s_or_b64 exec, exec, s[88:89]
	s_xor_b64 s[28:29], s[90:91], -1
	s_and_saveexec_b64 s[88:89], s[28:29]
	s_xor_b64 s[28:29], exec, s[88:89]
	s_cbranch_execz .LBB4_741
; %bb.740:                              ;   in Loop: Header=BB4_729 Depth=3
	v_or_b32_e32 v57, 64, v57
	s_waitcnt lgkmcnt(0)
	ds_write_b32 v0, v0
	s_trap 2
.LBB4_741:                              ;   in Loop: Header=BB4_729 Depth=3
	s_or_b64 exec, exec, s[28:29]
.LBB4_742:                              ;   in Loop: Header=BB4_729 Depth=3
	s_or_b64 exec, exec, s[78:79]
	v_and_b32_e32 v0, 0x108, v57
	v_cmp_ne_u32_e32 vcc, s64, v0
	;;#ASMSTART
	s_wakeup
	;;#ASMEND
	s_and_saveexec_b64 s[28:29], vcc
	s_xor_b64 s[28:29], exec, s[28:29]
                                        ; implicit-def: $vgpr0
; %bb.743:                              ;   in Loop: Header=BB4_729 Depth=3
	v_and_b32_e32 v0, 7, v50
                                        ; implicit-def: $vgpr50_vgpr51
; %bb.744:                              ;   in Loop: Header=BB4_729 Depth=3
	s_andn2_saveexec_b64 s[28:29], s[28:29]
	s_cbranch_execz .LBB4_746
; %bb.745:                              ;   in Loop: Header=BB4_729 Depth=3
	v_and_b32_e32 v0, 7, v50
	v_mad_u64_u32 v[4:5], s[78:79], v0, 24, v[12:13]
	v_ashrrev_i32_e32 v55, 31, v54
	flat_store_dwordx2 v[4:5], v[54:55] offset:8
.LBB4_746:                              ;   in Loop: Header=BB4_729 Depth=3
	s_or_b64 exec, exec, s[28:29]
	v_and_b32_e32 v4, 0x100, v57
	v_cmp_ne_u32_e32 vcc, 0, v4
	s_mov_b64 s[28:29], -1
                                        ; implicit-def: $vgpr4_vgpr5
	s_and_saveexec_b64 s[78:79], vcc
	s_cbranch_execz .LBB4_750
; %bb.747:                              ;   in Loop: Header=BB4_729 Depth=3
	v_mad_u64_u32 v[50:51], s[28:29], v0, 24, v[12:13]
	v_mov_b32_e32 v4, v51
	v_mad_u64_u32 v[4:5], s[28:29], v35, 24, v[4:5]
	v_mov_b32_e32 v51, v4
	flat_load_dword v4, v[50:51]
	s_waitcnt vmcnt(0) lgkmcnt(0)
	v_cmp_ne_u32_e32 vcc, 1, v4
	v_cmp_eq_u32_e64 s[28:29], 1, v4
                                        ; implicit-def: $vgpr4_vgpr5
	s_and_saveexec_b64 s[88:89], s[28:29]
	s_cbranch_execz .LBB4_749
; %bb.748:                              ;   in Loop: Header=BB4_729 Depth=3
	flat_load_dword v4, v[50:51] offset:4 glc
	s_waitcnt vmcnt(0) lgkmcnt(0)
	v_ashrrev_i32_e32 v5, 31, v4
.LBB4_749:                              ;   in Loop: Header=BB4_729 Depth=3
	s_or_b64 exec, exec, s[88:89]
	s_orn2_b64 s[28:29], vcc, exec
.LBB4_750:                              ;   in Loop: Header=BB4_729 Depth=3
	s_or_b64 exec, exec, s[78:79]
	s_and_saveexec_b64 s[78:79], s[28:29]
	s_cbranch_execz .LBB4_752
; %bb.751:                              ;   in Loop: Header=BB4_729 Depth=3
	v_mul_lo_u32 v7, v35, v60
	v_mul_lo_u32 v8, v0, v39
	v_mad_u64_u32 v[4:5], s[28:29], v0, v60, 0
	v_add3_u32 v5, v5, v8, v7
.LBB4_752:                              ;   in Loop: Header=BB4_729 Depth=3
	s_or_b64 exec, exec, s[78:79]
	v_cmp_eq_u32_e32 vcc, 0, v34
	v_cndmask_b32_e32 v0, v52, v38, vcc
	v_add_co_u32_e32 v4, vcc, v26, v4
	v_addc_co_u32_e32 v5, vcc, v27, v5, vcc
	v_add_u32_e32 v0, v0, v0
	ds_write_b64 v0, v[4:5] offset:584
	v_and_b32_e32 v0, 0x2000, v57
	v_cmp_ne_u32_e32 vcc, 0, v0
	s_and_saveexec_b64 s[28:29], vcc
	s_cbranch_execz .LBB4_754
; %bb.753:                              ;   in Loop: Header=BB4_729 Depth=3
	ds_read_b64 v[4:5], v0 offset:872
	s_waitcnt lgkmcnt(0)
	v_add_co_u32_e32 v4, vcc, 1, v4
	v_addc_co_u32_e32 v5, vcc, 0, v5, vcc
	ds_write_b64 v0, v[4:5] offset:872
.LBB4_754:                              ;   in Loop: Header=BB4_729 Depth=3
	s_or_b64 exec, exec, s[28:29]
	v_mov_b32_e32 v51, v3
	v_mov_b32_e32 v50, v2
.LBB4_755:                              ;   in Loop: Header=BB4_729 Depth=3
	s_or_b64 exec, exec, s[76:77]
	s_xor_b64 s[28:29], s[74:75], -1
	s_and_b64 s[28:29], exec, s[28:29]
	s_or_b64 s[42:43], s[28:29], s[42:43]
	s_and_saveexec_b64 s[28:29], s[12:13]
	s_cbranch_execz .LBB4_774
; %bb.756:                              ;   in Loop: Header=BB4_729 Depth=3
	s_and_saveexec_b64 s[74:75], s[58:59]
	s_xor_b64 s[74:75], exec, s[74:75]
	s_cbranch_execz .LBB4_771
; %bb.757:                              ;   in Loop: Header=BB4_729 Depth=3
	s_and_saveexec_b64 s[76:77], s[6:7]
	s_cbranch_execz .LBB4_770
; %bb.758:                              ;   in Loop: Header=BB4_729 Depth=3
	s_mov_b64 s[88:89], exec
	v_mbcnt_lo_u32_b32 v0, s88, 0
	v_mbcnt_hi_u32_b32 v0, s89, v0
	v_cmp_eq_u32_e32 vcc, 0, v0
	s_waitcnt vmcnt(0) lgkmcnt(0)
	buffer_wbinvl1_vol
	s_and_saveexec_b64 s[78:79], vcc
	s_cbranch_execz .LBB4_760
; %bb.759:                              ;   in Loop: Header=BB4_729 Depth=3
	s_bcnt1_i32_b64 s88, s[88:89]
	v_mov_b32_e32 v34, s88
	ds_add_u64 v0, v[34:35]
	s_trap 2
.LBB4_760:                              ;   in Loop: Header=BB4_729 Depth=3
	s_or_b64 exec, exec, s[78:79]
	s_trap 2
	ds_read_b64 v[2:3], v0
	s_waitcnt lgkmcnt(0)
	v_add_co_u32_e32 v14, vcc, v14, v20
	v_addc_co_u32_e32 v15, vcc, 0, v15, vcc
	v_cmp_lt_u64_e32 vcc, v[2:3], v[14:15]
	s_and_saveexec_b64 s[78:79], vcc
	s_cbranch_execz .LBB4_769
; %bb.761:                              ;   in Loop: Header=BB4_729 Depth=3
	s_mov_b32 s34, 0
	s_mov_b64 s[88:89], 0
                                        ; implicit-def: $sgpr90_sgpr91
                                        ; implicit-def: $sgpr92_sgpr93
	s_branch .LBB4_763
.LBB4_762:                              ;   in Loop: Header=BB4_763 Depth=4
	s_or_b64 exec, exec, s[30:31]
	s_and_b64 s[94:95], exec, vcc
	s_or_b64 s[88:89], s[94:95], s[88:89]
	s_andn2_b64 s[90:91], s[90:91], exec
	s_and_b64 s[94:95], s[92:93], exec
	s_or_b64 s[90:91], s[90:91], s[94:95]
	s_andn2_b64 exec, exec, s[88:89]
	s_cbranch_execz .LBB4_767
.LBB4_763:                              ;   Parent Loop BB4_73 Depth=1
                                        ;     Parent Loop BB4_544 Depth=2
                                        ;       Parent Loop BB4_729 Depth=3
                                        ; =>      This Inner Loop Header: Depth=4
	s_add_i32 s34, s34, 1
	s_cmpk_lg_i32 s34, 0x2710
	s_cselect_b64 s[94:95], -1, 0
	s_and_b64 vcc, exec, s[94:95]
	s_cbranch_vccz .LBB4_765
; %bb.764:                              ;   in Loop: Header=BB4_763 Depth=4
	s_mov_b64 vcc, -1
	s_or_b64 s[92:93], s[92:93], exec
	s_and_saveexec_b64 s[30:31], s[94:95]
	s_cbranch_execz .LBB4_762
	s_branch .LBB4_766
.LBB4_765:                              ;   in Loop: Header=BB4_763 Depth=4
	s_trap 2
	ds_read_b64 v[2:3], v0
	s_andn2_b64 s[94:95], s[94:95], exec
	s_mov_b32 s34, 0
	s_waitcnt lgkmcnt(0)
	flat_load_dword v0, v[2:3] glc
	s_waitcnt vmcnt(0) lgkmcnt(0)
	buffer_wbinvl1_vol
	v_cmp_eq_u32_e32 vcc, 0, v0
	s_and_b64 vcc, vcc, exec
	s_or_b64 s[94:95], s[94:95], vcc
	s_mov_b64 vcc, -1
	s_or_b64 s[92:93], s[92:93], exec
	s_and_saveexec_b64 s[30:31], s[94:95]
	s_cbranch_execz .LBB4_762
.LBB4_766:                              ;   in Loop: Header=BB4_763 Depth=4
	s_sleep 1
	s_trap 2
	ds_read_b64 v[2:3], v0
	s_waitcnt lgkmcnt(0)
	s_andn2_b64 s[92:93], s[92:93], exec
	v_cmp_ge_u64_e32 vcc, v[2:3], v[14:15]
	s_orn2_b64 vcc, vcc, exec
	s_branch .LBB4_762
.LBB4_767:                              ;   in Loop: Header=BB4_729 Depth=3
	s_or_b64 exec, exec, s[88:89]
	s_and_saveexec_b64 s[88:89], s[90:91]
	s_xor_b64 s[88:89], exec, s[88:89]
	s_cbranch_execz .LBB4_769
; %bb.768:                              ;   in Loop: Header=BB4_729 Depth=3
	ds_write_b32 v0, v10
	s_trap 2
.LBB4_769:                              ;   in Loop: Header=BB4_729 Depth=3
	s_or_b64 exec, exec, s[78:79]
	;;#ASMSTART
	s_wakeup
	;;#ASMEND
.LBB4_770:                              ;   in Loop: Header=BB4_729 Depth=3
	s_or_b64 exec, exec, s[76:77]
.LBB4_771:                              ;   in Loop: Header=BB4_729 Depth=3
	s_andn2_saveexec_b64 s[74:75], s[74:75]
	s_cbranch_execz .LBB4_773
; %bb.772:                              ;   in Loop: Header=BB4_729 Depth=3
	s_waitcnt vmcnt(0) lgkmcnt(0)
	buffer_wbinvl1_vol
	s_barrier
.LBB4_773:                              ;   in Loop: Header=BB4_729 Depth=3
	s_or_b64 exec, exec, s[74:75]
.LBB4_774:                              ;   in Loop: Header=BB4_729 Depth=3
	s_or_b64 exec, exec, s[28:29]
                                        ; implicit-def: $vgpr0
	s_and_saveexec_b64 s[28:29], s[72:73]
	s_xor_b64 s[28:29], exec, s[28:29]
	s_cbranch_execz .LBB4_786
; %bb.775:                              ;   in Loop: Header=BB4_729 Depth=3
	s_and_saveexec_b64 s[74:75], s[58:59]
	s_xor_b64 s[74:75], exec, s[74:75]
	s_cbranch_execz .LBB4_791
; %bb.776:                              ;   in Loop: Header=BB4_729 Depth=3
	s_and_saveexec_b64 s[76:77], s[6:7]
	s_cbranch_execz .LBB4_790
; %bb.777:                              ;   in Loop: Header=BB4_729 Depth=3
	s_mov_b64 s[88:89], exec
	v_mbcnt_lo_u32_b32 v0, s88, 0
	v_mbcnt_hi_u32_b32 v0, s89, v0
	v_cmp_eq_u32_e32 vcc, 0, v0
	;;#ASMSTART
	s_waitcnt lgkmcnt(0) vmcnt(0)
	;;#ASMEND
	s_and_saveexec_b64 s[78:79], vcc
	s_cbranch_execz .LBB4_779
; %bb.778:                              ;   in Loop: Header=BB4_729 Depth=3
	s_bcnt1_i32_b64 s88, s[88:89]
	v_mov_b32_e32 v34, s88
	s_waitcnt lgkmcnt(0)
	ds_add_u64 v0, v[34:35]
	s_trap 2
.LBB4_779:                              ;   in Loop: Header=BB4_729 Depth=3
	s_or_b64 exec, exec, s[78:79]
	s_trap 2
	ds_read_b64 v[2:3], v0
	s_waitcnt lgkmcnt(0)
	v_add_co_u32_e32 v14, vcc, v14, v20
	v_addc_co_u32_e32 v15, vcc, 0, v15, vcc
	v_cmp_lt_u64_e32 vcc, v[2:3], v[14:15]
	s_and_saveexec_b64 s[78:79], vcc
	s_cbranch_execz .LBB4_789
; %bb.780:                              ;   in Loop: Header=BB4_729 Depth=3
	s_mov_b32 s34, 0
	s_mov_b64 s[88:89], 0
                                        ; implicit-def: $sgpr90_sgpr91
                                        ; implicit-def: $sgpr92_sgpr93
	s_branch .LBB4_782
.LBB4_781:                              ;   in Loop: Header=BB4_782 Depth=4
	s_or_b64 exec, exec, s[30:31]
	s_and_b64 s[94:95], exec, vcc
	s_or_b64 s[88:89], s[94:95], s[88:89]
	s_andn2_b64 s[90:91], s[90:91], exec
	s_and_b64 s[94:95], s[92:93], exec
	s_or_b64 s[90:91], s[90:91], s[94:95]
	s_andn2_b64 exec, exec, s[88:89]
	s_cbranch_execz .LBB4_787
.LBB4_782:                              ;   Parent Loop BB4_73 Depth=1
                                        ;     Parent Loop BB4_544 Depth=2
                                        ;       Parent Loop BB4_729 Depth=3
                                        ; =>      This Inner Loop Header: Depth=4
	s_add_i32 s34, s34, 1
	s_cmpk_lg_i32 s34, 0x2710
	s_cselect_b64 s[94:95], -1, 0
	s_and_b64 vcc, exec, s[94:95]
	s_cbranch_vccz .LBB4_784
; %bb.783:                              ;   in Loop: Header=BB4_782 Depth=4
	s_mov_b64 vcc, -1
	s_or_b64 s[92:93], s[92:93], exec
	s_and_saveexec_b64 s[30:31], s[94:95]
	s_cbranch_execz .LBB4_781
	s_branch .LBB4_785
.LBB4_784:                              ;   in Loop: Header=BB4_782 Depth=4
	s_trap 2
	ds_read_b64 v[2:3], v0
	s_andn2_b64 s[94:95], s[94:95], exec
	s_mov_b32 s34, 0
	s_waitcnt vmcnt(0) lgkmcnt(0)
	flat_load_dword v0, v[2:3] glc
	s_waitcnt vmcnt(0) lgkmcnt(0)
	buffer_wbinvl1_vol
	v_cmp_eq_u32_e32 vcc, 0, v0
	s_and_b64 vcc, vcc, exec
	s_or_b64 s[94:95], s[94:95], vcc
	s_mov_b64 vcc, -1
	s_or_b64 s[92:93], s[92:93], exec
	s_and_saveexec_b64 s[30:31], s[94:95]
	s_cbranch_execz .LBB4_781
.LBB4_785:                              ;   in Loop: Header=BB4_782 Depth=4
	s_sleep 1
	s_trap 2
	ds_read_b64 v[2:3], v0
	s_waitcnt lgkmcnt(0)
	s_andn2_b64 s[92:93], s[92:93], exec
	v_cmp_ge_u64_e32 vcc, v[2:3], v[14:15]
	s_orn2_b64 vcc, vcc, exec
	s_branch .LBB4_781
.LBB4_786:                              ;   in Loop: Header=BB4_729 Depth=3
	s_andn2_saveexec_b64 s[28:29], s[28:29]
	s_cbranch_execnz .LBB4_794
	s_branch .LBB4_797
.LBB4_787:                              ;   in Loop: Header=BB4_729 Depth=3
	s_or_b64 exec, exec, s[88:89]
	s_and_saveexec_b64 s[88:89], s[90:91]
	s_xor_b64 s[88:89], exec, s[88:89]
	s_cbranch_execz .LBB4_789
; %bb.788:                              ;   in Loop: Header=BB4_729 Depth=3
	ds_write_b32 v0, v10
	s_trap 2
.LBB4_789:                              ;   in Loop: Header=BB4_729 Depth=3
	s_or_b64 exec, exec, s[78:79]
	;;#ASMSTART
	s_wakeup
	;;#ASMEND
.LBB4_790:                              ;   in Loop: Header=BB4_729 Depth=3
	s_or_b64 exec, exec, s[76:77]
.LBB4_791:                              ;   in Loop: Header=BB4_729 Depth=3
	s_andn2_saveexec_b64 s[74:75], s[74:75]
	s_cbranch_execz .LBB4_793
; %bb.792:                              ;   in Loop: Header=BB4_729 Depth=3
	;;#ASMSTART
	s_waitcnt lgkmcnt(0) vmcnt(0)
	;;#ASMEND
	s_waitcnt vmcnt(0) lgkmcnt(0)
	s_barrier
.LBB4_793:                              ;   in Loop: Header=BB4_729 Depth=3
	s_or_b64 exec, exec, s[74:75]
	v_and_b32_e32 v0, 16, v57
	s_andn2_saveexec_b64 s[28:29], s[28:29]
	s_cbranch_execz .LBB4_797
.LBB4_794:                              ;   in Loop: Header=BB4_729 Depth=3
	s_trap 2
	ds_read_b32 v0, v0
	v_cmp_lt_i32_e32 vcc, 0, v54
	v_and_b32_e32 v2, 16, v57
	s_waitcnt lgkmcnt(0)
	v_readfirstlane_b32 s74, v0
	s_cmp_eq_u32 s74, 0
	s_cselect_b64 s[74:75], -1, 0
	s_and_b64 s[74:75], vcc, s[74:75]
	v_cmp_ne_u32_e32 vcc, 0, v2
	v_and_b32_e32 v0, 16, v57
	s_and_b64 s[76:77], vcc, s[74:75]
	s_and_saveexec_b64 s[74:75], s[76:77]
	s_cbranch_execz .LBB4_796
; %bb.795:                              ;   in Loop: Header=BB4_729 Depth=3
	v_mov_b32_e32 v0, 1
	s_waitcnt vmcnt(0)
	buffer_wbinvl1_vol
.LBB4_796:                              ;   in Loop: Header=BB4_729 Depth=3
	s_or_b64 exec, exec, s[74:75]
.LBB4_797:                              ;   in Loop: Header=BB4_729 Depth=3
	s_or_b64 exec, exec, s[28:29]
	v_cmp_ne_u32_e32 vcc, 0, v0
	s_xor_b64 s[28:29], s[20:21], -1
	s_and_b64 s[74:75], vcc, s[28:29]
	s_and_saveexec_b64 s[28:29], s[74:75]
	s_cbranch_execz .LBB4_799
; %bb.798:                              ;   in Loop: Header=BB4_729 Depth=3
	flat_store_dword v[28:29], v10
.LBB4_799:                              ;   in Loop: Header=BB4_729 Depth=3
	s_or_b64 exec, exec, s[28:29]
	v_and_b32_e32 v0, 48, v57
	v_cmp_ne_u32_e32 vcc, 0, v0
	s_and_saveexec_b64 s[28:29], vcc
	s_cbranch_execz .LBB4_728
; %bb.800:                              ;   in Loop: Header=BB4_729 Depth=3
	v_add_co_u32_e32 v50, vcc, 2, v50
	v_addc_co_u32_e32 v51, vcc, 0, v51, vcc
	flat_store_dwordx2 v[24:25], v[50:51]
	s_branch .LBB4_728
.LBB4_801:                              ;   in Loop: Header=BB4_544 Depth=2
	s_or_b64 exec, exec, s[76:77]
	buffer_load_dword v41, off, s[0:3], s33 offset:96 ; 4-byte Folded Reload
	s_or_b64 exec, exec, s[74:75]
	v_cmp_gt_i32_e32 vcc, 2, v0
	s_and_saveexec_b64 s[40:41], vcc
	s_cbranch_execnz .LBB4_727
.LBB4_802:                              ;   in Loop: Header=BB4_544 Depth=2
	s_or_b64 exec, exec, s[40:41]
	s_add_i32 s28, s50, 1
	s_cmp_eq_u32 s50, s55
	s_cbranch_scc0 .LBB4_804
	s_branch .LBB4_805
.LBB4_803:                              ;   in Loop: Header=BB4_544 Depth=2
	s_or_b64 exec, exec, s[42:43]
	s_or_b64 exec, exec, s[40:41]
	s_add_i32 s28, s50, 1
	s_cmp_eq_u32 s50, s55
	s_cbranch_scc1 .LBB4_805
.LBB4_804:                              ;   in Loop: Header=BB4_544 Depth=2
	s_mov_b32 s50, s28
	s_branch .LBB4_544
.LBB4_805:                              ;   in Loop: Header=BB4_73 Depth=1
	v_mov_b32_e32 v0, 0
	v_mov_b32_e32 v17, 0
	s_and_saveexec_b64 s[28:29], s[26:27]
	s_cbranch_execz .LBB4_946
; %bb.806:                              ;   in Loop: Header=BB4_73 Depth=1
	buffer_load_dword v2, off, s[0:3], s33 offset:100 ; 4-byte Folded Reload
	buffer_load_dword v3, off, s[0:3], s33 offset:104 ; 4-byte Folded Reload
	s_mov_b32 s48, 1
	s_mov_b64 s[42:43], -1
	v_mov_b32_e32 v17, 0
	s_mov_b64 s[40:41], 0
	s_waitcnt vmcnt(0)
	flat_load_dword v0, v[2:3] offset:4
	buffer_load_dword v5, off, s[0:3], s33 offset:108 ; 4-byte Folded Reload
	s_nop 0
	buffer_load_dword v2, off, s[0:3], s33 offset:76 ; 4-byte Folded Reload
	buffer_load_dword v3, off, s[0:3], s33 offset:80 ; 4-byte Folded Reload
	;; [unrolled: 1-line block ×3, first 2 shown]
	s_waitcnt vmcnt(0) lgkmcnt(0)
	v_ashrrev_i32_e32 v4, 31, v0
	v_mad_u64_u32 v[2:3], s[26:27], v5, v0, v[2:3]
	v_mul_lo_u32 v0, v7, v0
	v_mul_lo_u32 v4, v5, v4
	v_add3_u32 v3, v0, v3, v4
	s_branch .LBB4_808
.LBB4_807:                              ;   in Loop: Header=BB4_808 Depth=2
	s_or_b64 exec, exec, s[26:27]
	v_add_u32_e32 v17, v41, v17
	v_cmp_ge_i32_e32 vcc, v17, v22
	s_xor_b64 s[26:27], s[42:43], -1
	s_or_b64 s[26:27], s[26:27], vcc
	s_and_b64 s[26:27], exec, s[26:27]
	s_or_b64 s[40:41], s[26:27], s[40:41]
	s_mov_b64 s[42:43], 0
	v_mov_b32_e32 v0, s48
	s_mov_b32 s48, 2
	s_andn2_b64 exec, exec, s[40:41]
	s_cbranch_execz .LBB4_945
.LBB4_808:                              ;   Parent Loop BB4_73 Depth=1
                                        ; =>  This Loop Header: Depth=2
                                        ;       Child Loop BB4_816 Depth 3
                                        ;       Child Loop BB4_840 Depth 3
	;; [unrolled: 1-line block ×9, first 2 shown]
	s_and_saveexec_b64 s[26:27], s[4:5]
	s_cbranch_execz .LBB4_810
; %bb.809:                              ;   in Loop: Header=BB4_808 Depth=2
	s_trap 2
	ds_read_b128 v[52:55], v0
	v_ashrrev_i32_e32 v7, 31, v17
	s_waitcnt lgkmcnt(0)
	v_add_co_u32_e32 v0, vcc, v52, v2
	v_addc_co_u32_e32 v5, vcc, v53, v3, vcc
	v_add_co_u32_e32 v4, vcc, v0, v17
	v_addc_co_u32_e32 v5, vcc, v5, v7, vcc
	ds_write_b64 v0, v[4:5]
	v_add_co_u32_e32 v0, vcc, v54, v2
	v_addc_co_u32_e32 v4, vcc, v55, v3, vcc
	v_add_co_u32_e32 v0, vcc, v0, v17
	v_addc_co_u32_e32 v4, vcc, v4, v7, vcc
	v_cmp_ne_u64_e32 vcc, 0, v[54:55]
	v_mov_b32_e32 v52, 0xd0
	v_lshlrev_b32_e32 v53, 11, v20
	v_cndmask_b32_e32 v5, 0, v4, vcc
	v_cndmask_b32_e32 v4, 0, v0, vcc
	ds_write_b64 v0, v[4:5]
.LBB4_810:                              ;   in Loop: Header=BB4_808 Depth=2
	s_or_b64 exec, exec, s[26:27]
	v_and_b32_e32 v0, 4, v57
	v_cmp_ne_u32_e32 vcc, 0, v0
	s_and_saveexec_b64 s[74:75], vcc
	s_cbranch_execz .LBB4_832
; %bb.811:                              ;   in Loop: Header=BB4_808 Depth=2
	v_add_co_u32_e32 v4, vcc, 2, v50
	v_addc_co_u32_e32 v5, vcc, 0, v51, vcc
	s_waitcnt vmcnt(0)
	v_cmp_lt_u64_e32 vcc, v[32:33], v[4:5]
	s_and_saveexec_b64 s[76:77], vcc
	s_cbranch_execz .LBB4_823
; %bb.812:                              ;   in Loop: Header=BB4_808 Depth=2
	v_and_b32_e32 v0, 64, v57
	s_mov_b32 s49, 0
	v_cmp_eq_u32_e32 vcc, 0, v0
	s_mov_b64 s[78:79], 0
                                        ; implicit-def: $sgpr88_sgpr89
                                        ; implicit-def: $sgpr90_sgpr91
                                        ; implicit-def: $sgpr92_sgpr93
	s_branch .LBB4_816
.LBB4_813:                              ;   in Loop: Header=BB4_816 Depth=3
	s_waitcnt vmcnt(0) lgkmcnt(0)
	v_cmp_ge_u64_e64 s[26:27], v[32:33], v[4:5]
	s_or_b64 s[34:35], s[34:35], exec
	s_orn2_b64 s[30:31], s[26:27], exec
.LBB4_814:                              ;   in Loop: Header=BB4_816 Depth=3
	s_or_b64 exec, exec, s[38:39]
	s_andn2_b64 s[26:27], s[92:93], exec
	s_and_b64 s[92:93], s[34:35], exec
	s_or_b64 s[92:93], s[26:27], s[92:93]
	s_andn2_b64 s[26:27], s[90:91], exec
	s_and_b64 s[90:91], s[30:31], exec
	s_or_b64 s[90:91], s[26:27], s[90:91]
.LBB4_815:                              ;   in Loop: Header=BB4_816 Depth=3
	s_or_b64 exec, exec, s[94:95]
	s_and_b64 s[26:27], exec, s[90:91]
	s_or_b64 s[78:79], s[26:27], s[78:79]
	s_andn2_b64 s[26:27], s[88:89], exec
	s_and_b64 s[88:89], s[92:93], exec
	s_or_b64 s[88:89], s[26:27], s[88:89]
	s_andn2_b64 exec, exec, s[78:79]
	s_cbranch_execz .LBB4_820
.LBB4_816:                              ;   Parent Loop BB4_73 Depth=1
                                        ;     Parent Loop BB4_808 Depth=2
                                        ; =>    This Inner Loop Header: Depth=3
	s_sleep 1
	s_waitcnt vmcnt(0) lgkmcnt(0)
	flat_load_dwordx2 v[32:33], v[24:25] glc
	s_or_b64 s[92:93], s[92:93], exec
	s_or_b64 s[90:91], s[90:91], exec
                                        ; implicit-def: $vgpr0
	s_and_saveexec_b64 s[94:95], vcc
	s_cbranch_execz .LBB4_815
; %bb.817:                              ;   in Loop: Header=BB4_816 Depth=3
	s_cmpk_lt_i32 s49, 0x270f
	s_cselect_b64 s[36:37], -1, 0
	s_cmpk_gt_i32 s49, 0x270e
	s_mov_b64 s[30:31], -1
	s_cbranch_scc0 .LBB4_819
; %bb.818:                              ;   in Loop: Header=BB4_816 Depth=3
	s_trap 2
	ds_read_b64 v[7:8], v0
	s_andn2_b64 s[36:37], s[36:37], exec
	s_mov_b32 s49, 0
	s_mov_b64 s[34:35], 0
	s_waitcnt vmcnt(0) lgkmcnt(0)
	flat_load_dword v0, v[7:8] glc
	s_waitcnt vmcnt(0) lgkmcnt(0)
	buffer_wbinvl1_vol
	v_cmp_eq_u32_e64 s[26:27], 0, v0
	s_and_b64 s[26:27], s[26:27], exec
	s_or_b64 s[36:37], s[36:37], s[26:27]
	s_and_saveexec_b64 s[38:39], s[36:37]
	s_cbranch_execz .LBB4_814
	s_branch .LBB4_813
.LBB4_819:                              ;   in Loop: Header=BB4_816 Depth=3
	s_add_i32 s49, s49, 1
	s_mov_b64 s[34:35], -1
                                        ; implicit-def: $vgpr0
	s_and_saveexec_b64 s[38:39], s[36:37]
	s_cbranch_execz .LBB4_814
	s_branch .LBB4_813
.LBB4_820:                              ;   in Loop: Header=BB4_808 Depth=2
	s_or_b64 exec, exec, s[78:79]
	s_xor_b64 s[26:27], s[88:89], -1
	s_and_saveexec_b64 s[78:79], s[26:27]
	s_xor_b64 s[26:27], exec, s[78:79]
	s_cbranch_execz .LBB4_822
; %bb.821:                              ;   in Loop: Header=BB4_808 Depth=2
	v_or_b32_e32 v57, 64, v57
	s_waitcnt lgkmcnt(0)
	ds_write_b32 v0, v0
	s_trap 2
.LBB4_822:                              ;   in Loop: Header=BB4_808 Depth=2
	s_or_b64 exec, exec, s[26:27]
.LBB4_823:                              ;   in Loop: Header=BB4_808 Depth=2
	s_or_b64 exec, exec, s[76:77]
	v_and_b32_e32 v0, 0x100, v57
	v_cmp_ne_u32_e32 vcc, 0, v0
	v_and_b32_e32 v0, 7, v50
	s_mov_b64 s[26:27], -1
	;;#ASMSTART
	s_wakeup
	;;#ASMEND
                                        ; implicit-def: $vgpr50_vgpr51
	s_and_saveexec_b64 s[76:77], vcc
	s_cbranch_execz .LBB4_827
; %bb.824:                              ;   in Loop: Header=BB4_808 Depth=2
	v_mad_u64_u32 v[52:53], s[26:27], v0, 24, v[12:13]
                                        ; implicit-def: $vgpr50_vgpr51
	flat_load_dword v7, v[52:53]
	s_waitcnt vmcnt(0) lgkmcnt(0)
	v_cmp_ne_u32_e32 vcc, 1, v7
	v_cmp_eq_u32_e64 s[26:27], 1, v7
	s_and_saveexec_b64 s[78:79], s[26:27]
	s_cbranch_execz .LBB4_826
; %bb.825:                              ;   in Loop: Header=BB4_808 Depth=2
	flat_load_dword v50, v[52:53] offset:4 glc
	s_waitcnt vmcnt(0) lgkmcnt(0)
	v_ashrrev_i32_e32 v51, 31, v50
.LBB4_826:                              ;   in Loop: Header=BB4_808 Depth=2
	s_or_b64 exec, exec, s[78:79]
	s_orn2_b64 s[26:27], vcc, exec
	v_lshlrev_b32_e32 v53, 11, v20
	v_mov_b32_e32 v52, 0xd0
.LBB4_827:                              ;   in Loop: Header=BB4_808 Depth=2
	s_or_b64 exec, exec, s[76:77]
	s_and_saveexec_b64 s[76:77], s[26:27]
; %bb.828:                              ;   in Loop: Header=BB4_808 Depth=2
	v_mad_i64_i32 v[50:51], s[26:27], v0, v60, 0
; %bb.829:                              ;   in Loop: Header=BB4_808 Depth=2
	s_or_b64 exec, exec, s[76:77]
	v_add_co_u32_e32 v7, vcc, v26, v50
	v_addc_co_u32_e32 v8, vcc, v27, v51, vcc
	ds_write_b64 v0, v[7:8] offset:720
	v_and_b32_e32 v0, 0x2000, v57
	v_cmp_ne_u32_e32 vcc, 0, v0
	s_and_saveexec_b64 s[26:27], vcc
	s_cbranch_execz .LBB4_831
; %bb.830:                              ;   in Loop: Header=BB4_808 Depth=2
	ds_read_b64 v[7:8], v0 offset:872
	s_waitcnt lgkmcnt(0)
	v_add_co_u32_e32 v7, vcc, 1, v7
	v_addc_co_u32_e32 v8, vcc, 0, v8, vcc
	ds_write_b64 v0, v[7:8] offset:872
.LBB4_831:                              ;   in Loop: Header=BB4_808 Depth=2
	s_or_b64 exec, exec, s[26:27]
	v_mov_b32_e32 v51, v5
	v_mov_b32_e32 v50, v4
.LBB4_832:                              ;   in Loop: Header=BB4_808 Depth=2
	s_or_b64 exec, exec, s[74:75]
	s_and_saveexec_b64 s[26:27], s[12:13]
	s_cbranch_execz .LBB4_851
; %bb.833:                              ;   in Loop: Header=BB4_808 Depth=2
	s_and_saveexec_b64 s[74:75], s[58:59]
	s_xor_b64 s[74:75], exec, s[74:75]
	s_cbranch_execz .LBB4_848
; %bb.834:                              ;   in Loop: Header=BB4_808 Depth=2
	s_and_saveexec_b64 s[76:77], s[6:7]
	s_cbranch_execz .LBB4_847
; %bb.835:                              ;   in Loop: Header=BB4_808 Depth=2
	s_mov_b64 s[88:89], exec
	v_mbcnt_lo_u32_b32 v0, s88, 0
	v_mbcnt_hi_u32_b32 v0, s89, v0
	v_cmp_eq_u32_e32 vcc, 0, v0
	s_waitcnt vmcnt(0) lgkmcnt(0)
	buffer_wbinvl1_vol
	s_and_saveexec_b64 s[78:79], vcc
	s_cbranch_execz .LBB4_837
; %bb.836:                              ;   in Loop: Header=BB4_808 Depth=2
	s_bcnt1_i32_b64 s88, s[88:89]
	v_mov_b32_e32 v34, s88
	ds_add_u64 v0, v[34:35]
	s_trap 2
.LBB4_837:                              ;   in Loop: Header=BB4_808 Depth=2
	s_or_b64 exec, exec, s[78:79]
	s_trap 2
	ds_read_b64 v[4:5], v0
	s_waitcnt lgkmcnt(0)
	v_add_co_u32_e32 v14, vcc, v14, v20
	v_addc_co_u32_e32 v15, vcc, 0, v15, vcc
	v_cmp_lt_u64_e32 vcc, v[4:5], v[14:15]
	s_and_saveexec_b64 s[78:79], vcc
	s_cbranch_execz .LBB4_846
; %bb.838:                              ;   in Loop: Header=BB4_808 Depth=2
	s_mov_b32 s34, 0
	s_mov_b64 s[88:89], 0
                                        ; implicit-def: $sgpr90_sgpr91
                                        ; implicit-def: $sgpr92_sgpr93
	s_branch .LBB4_840
.LBB4_839:                              ;   in Loop: Header=BB4_840 Depth=3
	s_or_b64 exec, exec, s[30:31]
	s_and_b64 s[94:95], exec, vcc
	s_or_b64 s[88:89], s[94:95], s[88:89]
	s_andn2_b64 s[90:91], s[90:91], exec
	s_and_b64 s[94:95], s[92:93], exec
	s_or_b64 s[90:91], s[90:91], s[94:95]
	s_andn2_b64 exec, exec, s[88:89]
	s_cbranch_execz .LBB4_844
.LBB4_840:                              ;   Parent Loop BB4_73 Depth=1
                                        ;     Parent Loop BB4_808 Depth=2
                                        ; =>    This Inner Loop Header: Depth=3
	s_add_i32 s34, s34, 1
	s_cmpk_lg_i32 s34, 0x2710
	s_cselect_b64 s[94:95], -1, 0
	s_and_b64 vcc, exec, s[94:95]
	s_cbranch_vccz .LBB4_842
; %bb.841:                              ;   in Loop: Header=BB4_840 Depth=3
	s_mov_b64 vcc, -1
	s_or_b64 s[92:93], s[92:93], exec
	s_and_saveexec_b64 s[30:31], s[94:95]
	s_cbranch_execz .LBB4_839
	s_branch .LBB4_843
.LBB4_842:                              ;   in Loop: Header=BB4_840 Depth=3
	s_trap 2
	ds_read_b64 v[4:5], v0
	s_andn2_b64 s[94:95], s[94:95], exec
	s_mov_b32 s34, 0
	s_waitcnt lgkmcnt(0)
	flat_load_dword v0, v[4:5] glc
	s_waitcnt vmcnt(0) lgkmcnt(0)
	buffer_wbinvl1_vol
	v_cmp_eq_u32_e32 vcc, 0, v0
	s_and_b64 vcc, vcc, exec
	s_or_b64 s[94:95], s[94:95], vcc
	s_mov_b64 vcc, -1
	s_or_b64 s[92:93], s[92:93], exec
	s_and_saveexec_b64 s[30:31], s[94:95]
	s_cbranch_execz .LBB4_839
.LBB4_843:                              ;   in Loop: Header=BB4_840 Depth=3
	s_sleep 1
	s_trap 2
	ds_read_b64 v[4:5], v0
	s_waitcnt lgkmcnt(0)
	s_andn2_b64 s[92:93], s[92:93], exec
	v_cmp_ge_u64_e32 vcc, v[4:5], v[14:15]
	s_orn2_b64 vcc, vcc, exec
	s_branch .LBB4_839
.LBB4_844:                              ;   in Loop: Header=BB4_808 Depth=2
	s_or_b64 exec, exec, s[88:89]
	s_and_saveexec_b64 s[88:89], s[90:91]
	s_xor_b64 s[88:89], exec, s[88:89]
	s_cbranch_execz .LBB4_846
; %bb.845:                              ;   in Loop: Header=BB4_808 Depth=2
	ds_write_b32 v0, v10
	s_trap 2
.LBB4_846:                              ;   in Loop: Header=BB4_808 Depth=2
	s_or_b64 exec, exec, s[78:79]
	;;#ASMSTART
	s_wakeup
	;;#ASMEND
.LBB4_847:                              ;   in Loop: Header=BB4_808 Depth=2
	s_or_b64 exec, exec, s[76:77]
.LBB4_848:                              ;   in Loop: Header=BB4_808 Depth=2
	s_andn2_saveexec_b64 s[74:75], s[74:75]
	s_cbranch_execz .LBB4_850
; %bb.849:                              ;   in Loop: Header=BB4_808 Depth=2
	s_waitcnt vmcnt(0) lgkmcnt(0)
	buffer_wbinvl1_vol
	s_barrier
.LBB4_850:                              ;   in Loop: Header=BB4_808 Depth=2
	s_or_b64 exec, exec, s[74:75]
.LBB4_851:                              ;   in Loop: Header=BB4_808 Depth=2
	s_or_b64 exec, exec, s[26:27]
	s_trap 2
	ds_read_b32 v36, v0
	v_and_b32_e32 v0, 0x4000, v57
	v_cmp_ne_u32_e32 vcc, 0, v0
	s_xor_b64 s[26:27], s[10:11], -1
	s_and_b64 s[74:75], s[26:27], vcc
	s_and_saveexec_b64 s[26:27], s[74:75]
	s_cbranch_execz .LBB4_870
; %bb.852:                              ;   in Loop: Header=BB4_808 Depth=2
	s_and_saveexec_b64 s[74:75], s[58:59]
	s_xor_b64 s[74:75], exec, s[74:75]
	s_cbranch_execz .LBB4_867
; %bb.853:                              ;   in Loop: Header=BB4_808 Depth=2
	s_and_saveexec_b64 s[76:77], s[6:7]
	s_cbranch_execz .LBB4_866
; %bb.854:                              ;   in Loop: Header=BB4_808 Depth=2
	s_mov_b64 s[88:89], exec
	v_mbcnt_lo_u32_b32 v0, s88, 0
	v_mbcnt_hi_u32_b32 v0, s89, v0
	v_cmp_eq_u32_e32 vcc, 0, v0
	s_waitcnt vmcnt(0) lgkmcnt(0)
	buffer_wbinvl1_vol
	s_and_saveexec_b64 s[78:79], vcc
	s_cbranch_execz .LBB4_856
; %bb.855:                              ;   in Loop: Header=BB4_808 Depth=2
	s_bcnt1_i32_b64 s88, s[88:89]
	v_mov_b32_e32 v34, s88
	ds_add_u64 v0, v[34:35]
	s_trap 2
.LBB4_856:                              ;   in Loop: Header=BB4_808 Depth=2
	s_or_b64 exec, exec, s[78:79]
	s_trap 2
	ds_read_b64 v[4:5], v0
	s_waitcnt lgkmcnt(0)
	v_add_co_u32_e32 v14, vcc, v14, v20
	v_addc_co_u32_e32 v15, vcc, 0, v15, vcc
	v_cmp_lt_u64_e32 vcc, v[4:5], v[14:15]
	s_and_saveexec_b64 s[78:79], vcc
	s_cbranch_execz .LBB4_865
; %bb.857:                              ;   in Loop: Header=BB4_808 Depth=2
	s_mov_b32 s34, 0
	s_mov_b64 s[88:89], 0
                                        ; implicit-def: $sgpr90_sgpr91
                                        ; implicit-def: $sgpr92_sgpr93
	s_branch .LBB4_859
.LBB4_858:                              ;   in Loop: Header=BB4_859 Depth=3
	s_or_b64 exec, exec, s[30:31]
	s_and_b64 s[94:95], exec, vcc
	s_or_b64 s[88:89], s[94:95], s[88:89]
	s_andn2_b64 s[90:91], s[90:91], exec
	s_and_b64 s[94:95], s[92:93], exec
	s_or_b64 s[90:91], s[90:91], s[94:95]
	s_andn2_b64 exec, exec, s[88:89]
	s_cbranch_execz .LBB4_863
.LBB4_859:                              ;   Parent Loop BB4_73 Depth=1
                                        ;     Parent Loop BB4_808 Depth=2
                                        ; =>    This Inner Loop Header: Depth=3
	s_add_i32 s34, s34, 1
	s_cmpk_lg_i32 s34, 0x2710
	s_cselect_b64 s[94:95], -1, 0
	s_and_b64 vcc, exec, s[94:95]
	s_cbranch_vccz .LBB4_861
; %bb.860:                              ;   in Loop: Header=BB4_859 Depth=3
	s_mov_b64 vcc, -1
	s_or_b64 s[92:93], s[92:93], exec
	s_and_saveexec_b64 s[30:31], s[94:95]
	s_cbranch_execz .LBB4_858
	s_branch .LBB4_862
.LBB4_861:                              ;   in Loop: Header=BB4_859 Depth=3
	s_trap 2
	ds_read_b64 v[4:5], v0
	s_andn2_b64 s[94:95], s[94:95], exec
	s_mov_b32 s34, 0
	s_waitcnt lgkmcnt(0)
	flat_load_dword v0, v[4:5] glc
	s_waitcnt vmcnt(0) lgkmcnt(0)
	buffer_wbinvl1_vol
	v_cmp_eq_u32_e32 vcc, 0, v0
	s_and_b64 vcc, vcc, exec
	s_or_b64 s[94:95], s[94:95], vcc
	s_mov_b64 vcc, -1
	s_or_b64 s[92:93], s[92:93], exec
	s_and_saveexec_b64 s[30:31], s[94:95]
	s_cbranch_execz .LBB4_858
.LBB4_862:                              ;   in Loop: Header=BB4_859 Depth=3
	s_sleep 1
	s_trap 2
	ds_read_b64 v[4:5], v0
	s_waitcnt lgkmcnt(0)
	s_andn2_b64 s[92:93], s[92:93], exec
	v_cmp_ge_u64_e32 vcc, v[4:5], v[14:15]
	s_orn2_b64 vcc, vcc, exec
	s_branch .LBB4_858
.LBB4_863:                              ;   in Loop: Header=BB4_808 Depth=2
	s_or_b64 exec, exec, s[88:89]
	s_and_saveexec_b64 s[88:89], s[90:91]
	s_xor_b64 s[88:89], exec, s[88:89]
	s_cbranch_execz .LBB4_865
; %bb.864:                              ;   in Loop: Header=BB4_808 Depth=2
	ds_write_b32 v0, v10
	s_trap 2
.LBB4_865:                              ;   in Loop: Header=BB4_808 Depth=2
	s_or_b64 exec, exec, s[78:79]
	;;#ASMSTART
	s_wakeup
	;;#ASMEND
.LBB4_866:                              ;   in Loop: Header=BB4_808 Depth=2
	s_or_b64 exec, exec, s[76:77]
.LBB4_867:                              ;   in Loop: Header=BB4_808 Depth=2
	s_andn2_saveexec_b64 s[74:75], s[74:75]
	s_cbranch_execz .LBB4_869
; %bb.868:                              ;   in Loop: Header=BB4_808 Depth=2
	s_waitcnt vmcnt(0) lgkmcnt(0)
	buffer_wbinvl1_vol
	s_barrier
.LBB4_869:                              ;   in Loop: Header=BB4_808 Depth=2
	s_or_b64 exec, exec, s[74:75]
.LBB4_870:                              ;   in Loop: Header=BB4_808 Depth=2
	s_or_b64 exec, exec, s[26:27]
	v_sub_u32_e32 v0, v22, v17
	s_trap 2
	ds_read_b64 v[4:5], v0
	v_min_i32_e32 v41, v41, v0
	s_waitcnt lgkmcnt(0)
	v_cmp_eq_u64_e32 vcc, 0, v[4:5]
	s_cbranch_vccnz .LBB4_878
; %bb.871:                              ;   in Loop: Header=BB4_808 Depth=2
	s_trap 2
	ds_read_b64 v[52:53], v0
	s_waitcnt lgkmcnt(0)
	v_cmp_eq_u64_e32 vcc, 0, v[52:53]
	s_cbranch_vccnz .LBB4_883
; %bb.872:                              ;   in Loop: Header=BB4_808 Depth=2
	s_mov_b64 s[26:27], -1
	s_and_saveexec_b64 s[74:75], s[24:25]
	s_cbranch_execz .LBB4_874
; %bb.873:                              ;   in Loop: Header=BB4_808 Depth=2
	ds_read_b32 v0, v0 offset:720
	s_waitcnt lgkmcnt(0)
	v_and_b32_e32 v0, 15, v0
	v_cmp_eq_u32_e32 vcc, 0, v0
	s_orn2_b64 s[26:27], vcc, exec
.LBB4_874:                              ;   in Loop: Header=BB4_808 Depth=2
	s_or_b64 exec, exec, s[74:75]
	s_and_saveexec_b64 s[74:75], s[14:15]
	s_cbranch_execz .LBB4_876
; %bb.875:                              ;   in Loop: Header=BB4_808 Depth=2
	ds_read_b32 v0, v0 offset:784
	s_waitcnt lgkmcnt(0)
	v_and_b32_e32 v0, 15, v0
	v_cmp_eq_u32_e32 vcc, 0, v0
	s_and_b64 s[76:77], s[26:27], vcc
	s_andn2_b64 s[26:27], s[26:27], exec
	s_and_b64 s[76:77], s[76:77], exec
	s_or_b64 s[26:27], s[26:27], s[76:77]
.LBB4_876:                              ;   in Loop: Header=BB4_808 Depth=2
	s_or_b64 exec, exec, s[74:75]
	v_cmp_eq_u32_e32 vcc, 0, v36
	s_xor_b64 s[26:27], s[26:27], -1
	v_cndmask_b32_e32 v34, 0, v41, vcc
	v_cndmask_b32_e64 v0, 0, 1, s[26:27]
	s_mov_b64 s[76:77], -1
	v_cmp_ne_u32_e32 vcc, 0, v0
	v_mov_b32_e32 v36, 0
	v_mov_b32_e32 v48, v34
	;; [unrolled: 1-line block ×4, first 2 shown]
	s_cbranch_vccz .LBB4_884
; %bb.877:                              ;   in Loop: Header=BB4_808 Depth=2
	s_and_saveexec_b64 s[26:27], s[76:77]
	s_cbranch_execnz .LBB4_897
	s_branch .LBB4_905
.LBB4_878:                              ;   in Loop: Header=BB4_808 Depth=2
	s_mov_b64 s[26:27], 0
	s_and_saveexec_b64 s[74:75], s[12:13]
	s_cbranch_execnz .LBB4_906
.LBB4_879:                              ;   in Loop: Header=BB4_808 Depth=2
	s_or_b64 exec, exec, s[74:75]
	s_and_saveexec_b64 s[74:75], s[18:19]
	s_xor_b64 s[74:75], exec, s[74:75]
	s_cbranch_execz .LBB4_924
.LBB4_880:                              ;   in Loop: Header=BB4_808 Depth=2
	v_and_b32_e32 v0, 16, v57
	v_cmp_ne_u32_e32 vcc, 0, v0
	s_and_b64 s[76:77], vcc, s[26:27]
	s_and_saveexec_b64 s[26:27], s[76:77]
	s_cbranch_execz .LBB4_882
; %bb.881:                              ;   in Loop: Header=BB4_808 Depth=2
	s_waitcnt vmcnt(0) lgkmcnt(0)
	buffer_wbinvl1_vol
.LBB4_882:                              ;   in Loop: Header=BB4_808 Depth=2
	s_or_b64 exec, exec, s[26:27]
	s_andn2_saveexec_b64 s[26:27], s[74:75]
	s_cbranch_execz .LBB4_943
	s_branch .LBB4_925
.LBB4_883:                              ;   in Loop: Header=BB4_808 Depth=2
	s_mov_b64 s[26:27], 0
	v_lshlrev_b32_e32 v53, 11, v20
	v_mov_b32_e32 v52, 0xd0
	s_and_saveexec_b64 s[74:75], s[12:13]
	s_cbranch_execz .LBB4_879
	s_branch .LBB4_906
.LBB4_884:                              ;   in Loop: Header=BB4_808 Depth=2
	v_ashrrev_i32_e32 v0, 31, v34
	v_lshrrev_b32_e32 v0, 21, v0
	v_add_u32_e32 v0, v34, v0
	v_ashrrev_i32_e32 v0, 11, v0
	v_sub_u32_e32 v30, v0, v58
	v_cmp_lt_i32_e32 vcc, 0, v30
	s_and_saveexec_b64 s[26:27], vcc
	s_cbranch_execz .LBB4_888
; %bb.885:                              ;   in Loop: Header=BB4_808 Depth=2
	buffer_load_dword v54, off, s[0:3], s33 offset:88 ; 4-byte Folded Reload
	buffer_load_dword v55, off, s[0:3], s33 offset:92 ; 4-byte Folded Reload
	v_mov_b32_e32 v23, v41
	s_mov_b64 s[74:75], 0
	v_lshlrev_b32_e32 v9, 11, v20
.LBB4_886:                              ;   Parent Loop BB4_73 Depth=1
                                        ;     Parent Loop BB4_808 Depth=2
                                        ; =>    This Inner Loop Header: Depth=3
	s_waitcnt vmcnt(0)
	v_add_co_u32_e32 v7, vcc, v4, v54
	v_addc_co_u32_e32 v8, vcc, v5, v55, vcc
	global_load_dwordx4 v[38:41], v[7:8], off glc slc
	global_load_dwordx4 v[42:45], v[7:8], off offset:1024 glc slc
	v_add_co_u32_e32 v7, vcc, v52, v54
	v_addc_co_u32_e32 v8, vcc, v53, v55, vcc
	v_add_co_u32_e32 v54, vcc, v54, v9
	v_sub_u32_e32 v30, v30, v20
	v_addc_co_u32_e32 v55, vcc, 0, v55, vcc
	v_cmp_gt_i32_e32 vcc, 1, v30
	s_or_b64 s[74:75], vcc, s[74:75]
	s_waitcnt vmcnt(1)
	global_store_dwordx4 v[7:8], v[38:41], off glc slc
	s_waitcnt vmcnt(1)
	global_store_dwordx4 v[7:8], v[42:45], off offset:1024 glc slc
	s_andn2_b64 exec, exec, s[74:75]
	s_cbranch_execnz .LBB4_886
; %bb.887:                              ;   in Loop: Header=BB4_808 Depth=2
	s_or_b64 exec, exec, s[74:75]
	v_ashrrev_i32_e32 v39, 31, v60
	v_mov_b32_e32 v38, 0x88
	v_mov_b32_e32 v41, v23
.LBB4_888:                              ;   in Loop: Header=BB4_808 Depth=2
	s_or_b64 exec, exec, s[26:27]
	v_lshlrev_b32_e32 v0, 11, v0
	v_cmp_ne_u32_e32 vcc, v34, v0
	s_mov_b64 s[76:77], 0
	v_mov_b32_e32 v36, 0
                                        ; implicit-def: $vgpr48
                                        ; implicit-def: $vgpr49
                                        ; implicit-def: $vgpr23
	s_and_saveexec_b64 s[74:75], vcc
	s_cbranch_execz .LBB4_896
; %bb.889:                              ;   in Loop: Header=BB4_808 Depth=2
	buffer_load_dword v9, off, s[0:3], s33 offset:72 ; 4-byte Folded Reload
	v_lshlrev_b32_e32 v8, 6, v30
	v_sub_u32_e32 v7, v34, v0
	s_waitcnt vmcnt(0)
	v_sub_u32_e32 v8, v9, v8
	v_ashrrev_i32_e32 v9, 31, v8
	v_lshrrev_b32_e32 v9, 26, v9
	v_add_u32_e32 v9, v8, v9
	v_ashrrev_i32_e32 v10, 6, v9
	v_and_b32_e32 v9, 0xffffffc0, v9
	v_sub_u32_e32 v30, v8, v9
	v_lshlrev_b32_e32 v8, 4, v30
	v_lshl_add_u32 v36, v10, 10, v8
	v_ashrrev_i32_e32 v8, 31, v7
	v_lshrrev_b32_e32 v8, 22, v8
	v_add_u32_e32 v8, v7, v8
	v_and_b32_e32 v38, 0xfffffc00, v8
	v_sub_u32_e32 v55, v7, v38
	v_ashrrev_i32_e32 v9, 10, v8
	v_cmp_lt_i32_e32 vcc, 15, v55
	v_sub_u32_e32 v23, v7, v36
	v_addc_co_u32_e64 v7, s[26:27], 0, v9, vcc
	v_sub_u32_e32 v54, v7, v10
	v_cmp_lt_i32_e64 s[26:27], 15, v23
	s_and_saveexec_b64 s[76:77], s[26:27]
	s_cbranch_execz .LBB4_893
; %bb.890:                              ;   in Loop: Header=BB4_808 Depth=2
	v_add_u32_e32 v36, v36, v0
	v_mov_b32_e32 v9, v41
	v_ashrrev_i32_e32 v48, 31, v36
	s_mov_b64 s[78:79], 0
.LBB4_891:                              ;   Parent Loop BB4_73 Depth=1
                                        ;     Parent Loop BB4_808 Depth=2
                                        ; =>    This Inner Loop Header: Depth=3
	v_add_co_u32_e64 v7, s[26:27], v4, v36
	v_addc_co_u32_e64 v8, s[26:27], v5, v48, s[26:27]
	global_load_dwordx4 v[39:42], v[7:8], off glc slc
	v_add_co_u32_e64 v7, s[26:27], v52, v36
	v_addc_co_u32_e64 v8, s[26:27], v53, v48, s[26:27]
	v_add_co_u32_e64 v36, s[26:27], v36, v1
	v_sub_u32_e32 v23, v23, v37
	v_addc_co_u32_e64 v48, s[26:27], v48, v18, s[26:27]
	v_cmp_gt_i32_e64 s[26:27], 16, v23
	v_sub_u32_e32 v54, v54, v20
	s_or_b64 s[78:79], s[26:27], s[78:79]
	s_waitcnt vmcnt(0)
	global_store_dwordx4 v[7:8], v[39:42], off glc slc
	s_andn2_b64 exec, exec, s[78:79]
	s_cbranch_execnz .LBB4_891
; %bb.892:                              ;   in Loop: Header=BB4_808 Depth=2
	s_or_b64 exec, exec, s[78:79]
	v_ashrrev_i32_e32 v39, 31, v60
	v_mov_b32_e32 v41, v9
.LBB4_893:                              ;   in Loop: Header=BB4_808 Depth=2
	s_or_b64 exec, exec, s[76:77]
	v_and_b32_e32 v40, 15, v34
	v_cndmask_b32_e32 v48, v55, v40, vcc
	v_mov_b32_e32 v36, 0
	s_mov_b64 s[78:79], 0
	v_cmp_ne_u32_e64 s[26:27], 0, v48
                                        ; implicit-def: $vgpr49
                                        ; implicit-def: $vgpr23
	s_mov_b64 s[76:77], exec
	s_and_b64 s[26:27], s[76:77], s[26:27]
	v_mov_b32_e32 v10, 1
	s_mov_b64 exec, s[26:27]
	s_cbranch_execz .LBB4_895
; %bb.894:                              ;   in Loop: Header=BB4_808 Depth=2
	v_sub_u32_e32 v7, v55, v40
	v_cndmask_b32_e32 v7, 0, v7, vcc
	v_cmp_lt_i32_e32 vcc, 0, v54
	v_add3_u32 v36, v38, v0, v7
	v_cndmask_b32_e32 v0, 0, v20, vcc
	v_sub_u32_e32 v0, v0, v54
	v_lshl_add_u32 v49, v0, 6, v30
	v_ashrrev_i32_e32 v0, 31, v49
	v_lshrrev_b32_e32 v0, 26, v0
	v_add_u32_e32 v0, v49, v0
	v_ashrrev_i32_e32 v23, 6, v0
	s_mov_b64 s[78:79], exec
.LBB4_895:                              ;   in Loop: Header=BB4_808 Depth=2
	s_or_b64 exec, exec, s[76:77]
	s_and_b64 s[76:77], s[78:79], exec
	v_mov_b32_e32 v38, 0x88
.LBB4_896:                              ;   in Loop: Header=BB4_808 Depth=2
	s_or_b64 exec, exec, s[74:75]
	s_and_saveexec_b64 s[26:27], s[76:77]
	s_cbranch_execz .LBB4_905
.LBB4_897:                              ;   in Loop: Header=BB4_808 Depth=2
	v_ashrrev_i32_e32 v0, 31, v48
	v_lshrrev_b32_e32 v0, 23, v0
	v_add_u32_e32 v0, v48, v0
	v_ashrrev_i32_e32 v38, 9, v0
	v_sub_u32_e32 v0, v38, v23
	v_ashrrev_i32_e32 v7, 31, v49
	v_cmp_lt_i32_e32 vcc, 0, v0
	v_lshrrev_b32_e32 v30, 26, v7
	s_and_saveexec_b64 s[74:75], vcc
	s_cbranch_execz .LBB4_901
; %bb.898:                              ;   in Loop: Header=BB4_808 Depth=2
	v_add_u32_e32 v7, v49, v30
	v_and_b32_e32 v7, 0xffffffc0, v7
	v_sub_u32_e32 v7, v49, v7
	v_lshlrev_b32_e32 v8, 9, v23
	v_add3_u32 v23, v36, v7, v8
	v_mov_b32_e32 v44, v41
	v_ashrrev_i32_e32 v54, 31, v23
	s_mov_b64 s[76:77], 0
.LBB4_899:                              ;   Parent Loop BB4_73 Depth=1
                                        ;     Parent Loop BB4_808 Depth=2
                                        ; =>    This Inner Loop Header: Depth=3
	v_add_co_u32_e32 v7, vcc, v23, v4
	v_addc_co_u32_e32 v8, vcc, v54, v5, vcc
	flat_load_ubyte v9, v[7:8] glc slc
	flat_load_ubyte v10, v[7:8] offset:64 glc slc
	flat_load_ubyte v39, v[7:8] offset:128 glc slc
	;; [unrolled: 1-line block ×7, first 2 shown]
	v_add_co_u32_e32 v7, vcc, v23, v52
	v_addc_co_u32_e32 v8, vcc, v54, v53, vcc
	v_add_co_u32_e32 v4, vcc, v4, v19
	v_addc_co_u32_e32 v5, vcc, 0, v5, vcc
	v_add_co_u32_e32 v52, vcc, v52, v19
	v_sub_u32_e32 v0, v0, v20
	v_addc_co_u32_e32 v53, vcc, 0, v53, vcc
	v_cmp_gt_i32_e32 vcc, 1, v0
	s_or_b64 s[76:77], vcc, s[76:77]
	s_waitcnt vmcnt(0) lgkmcnt(0)
	flat_store_byte v[7:8], v9 glc slc
	flat_store_byte v[7:8], v10 offset:64 glc slc
	flat_store_byte v[7:8], v39 offset:128 glc slc
	;; [unrolled: 1-line block ×7, first 2 shown]
	s_andn2_b64 exec, exec, s[76:77]
	s_cbranch_execnz .LBB4_899
; %bb.900:                              ;   in Loop: Header=BB4_808 Depth=2
	s_or_b64 exec, exec, s[76:77]
	v_ashrrev_i32_e32 v39, 31, v60
	v_mov_b32_e32 v10, 1
	v_mov_b32_e32 v41, v44
.LBB4_901:                              ;   in Loop: Header=BB4_808 Depth=2
	s_or_b64 exec, exec, s[74:75]
	v_lshlrev_b32_e32 v4, 9, v38
	v_cmp_ne_u32_e32 vcc, v48, v4
	s_and_b64 s[74:75], exec, vcc
	v_mov_b32_e32 v38, 0x88
	s_mov_b64 exec, s[74:75]
	s_cbranch_execz .LBB4_905
; %bb.902:                              ;   in Loop: Header=BB4_808 Depth=2
	v_add_u32_e32 v5, v49, v30
	v_and_b32_e32 v5, 0xffffffc0, v5
	v_sub_u32_e32 v5, v49, v5
	v_lshlrev_b32_e32 v0, 6, v0
	v_sub_u32_e32 v0, v5, v0
	v_add_u32_e32 v4, v4, v0
	v_sub_u32_e32 v0, v48, v4
	v_cmp_lt_i32_e32 vcc, 0, v0
	s_and_b64 exec, exec, vcc
	s_cbranch_execz .LBB4_905
; %bb.903:                              ;   in Loop: Header=BB4_808 Depth=2
	v_add_u32_e32 v23, v4, v36
	s_trap 2
	ds_read_b64 v[4:5], v0
	v_ashrrev_i32_e32 v30, 31, v23
	s_mov_b64 s[74:75], 0
.LBB4_904:                              ;   Parent Loop BB4_73 Depth=1
                                        ;     Parent Loop BB4_808 Depth=2
                                        ; =>    This Inner Loop Header: Depth=3
	s_waitcnt lgkmcnt(0)
	v_add_co_u32_e32 v7, vcc, v4, v23
	v_addc_co_u32_e32 v8, vcc, v5, v30, vcc
	flat_load_ubyte v9, v[7:8] glc slc
	v_add_co_u32_e32 v23, vcc, v23, v11
	v_sub_u32_e32 v0, v0, v16
	v_addc_co_u32_e32 v30, vcc, v30, v6, vcc
	v_cmp_gt_i32_e32 vcc, 1, v0
	s_or_b64 s[74:75], vcc, s[74:75]
	s_waitcnt vmcnt(0) lgkmcnt(0)
	flat_store_byte v[7:8], v9 glc slc
	s_andn2_b64 exec, exec, s[74:75]
	s_cbranch_execnz .LBB4_904
.LBB4_905:                              ;   in Loop: Header=BB4_808 Depth=2
	s_or_b64 exec, exec, s[26:27]
	v_cmp_lt_i32_e64 s[26:27], 0, v34
	v_lshlrev_b32_e32 v53, 11, v20
	v_mov_b32_e32 v52, 0xd0
	s_and_saveexec_b64 s[74:75], s[12:13]
	s_cbranch_execz .LBB4_879
.LBB4_906:                              ;   in Loop: Header=BB4_808 Depth=2
	s_and_saveexec_b64 s[76:77], s[58:59]
	s_xor_b64 s[76:77], exec, s[76:77]
	s_cbranch_execz .LBB4_921
; %bb.907:                              ;   in Loop: Header=BB4_808 Depth=2
	s_and_saveexec_b64 s[78:79], s[6:7]
	s_cbranch_execz .LBB4_920
; %bb.908:                              ;   in Loop: Header=BB4_808 Depth=2
	s_mov_b64 s[90:91], exec
	v_mbcnt_lo_u32_b32 v0, s90, 0
	v_mbcnt_hi_u32_b32 v0, s91, v0
	v_cmp_eq_u32_e32 vcc, 0, v0
	s_waitcnt vmcnt(0) lgkmcnt(0)
	buffer_wbinvl1_vol
	s_and_saveexec_b64 s[88:89], vcc
	s_cbranch_execz .LBB4_910
; %bb.909:                              ;   in Loop: Header=BB4_808 Depth=2
	s_bcnt1_i32_b64 s90, s[90:91]
	v_mov_b32_e32 v34, s90
	ds_add_u64 v0, v[34:35]
	s_trap 2
.LBB4_910:                              ;   in Loop: Header=BB4_808 Depth=2
	s_or_b64 exec, exec, s[88:89]
	s_trap 2
	ds_read_b64 v[4:5], v0
	s_waitcnt lgkmcnt(0)
	v_add_co_u32_e32 v14, vcc, v14, v20
	v_addc_co_u32_e32 v15, vcc, 0, v15, vcc
	v_cmp_lt_u64_e32 vcc, v[4:5], v[14:15]
	s_and_saveexec_b64 s[88:89], vcc
	s_cbranch_execz .LBB4_919
; %bb.911:                              ;   in Loop: Header=BB4_808 Depth=2
	s_mov_b32 s36, 0
	s_mov_b64 s[90:91], 0
                                        ; implicit-def: $sgpr92_sgpr93
                                        ; implicit-def: $sgpr94_sgpr95
	s_branch .LBB4_913
.LBB4_912:                              ;   in Loop: Header=BB4_913 Depth=3
	s_or_b64 exec, exec, s[34:35]
	s_and_b64 vcc, exec, vcc
	s_or_b64 s[90:91], vcc, s[90:91]
	s_andn2_b64 s[92:93], s[92:93], exec
	s_and_b64 vcc, s[94:95], exec
	s_or_b64 s[92:93], s[92:93], vcc
	s_andn2_b64 exec, exec, s[90:91]
	s_cbranch_execz .LBB4_917
.LBB4_913:                              ;   Parent Loop BB4_73 Depth=1
                                        ;     Parent Loop BB4_808 Depth=2
                                        ; =>    This Inner Loop Header: Depth=3
	s_add_i32 s36, s36, 1
	s_cmpk_lg_i32 s36, 0x2710
	s_cselect_b64 s[30:31], -1, 0
	s_and_b64 vcc, exec, s[30:31]
	s_cbranch_vccz .LBB4_915
; %bb.914:                              ;   in Loop: Header=BB4_913 Depth=3
	s_mov_b64 vcc, -1
	s_or_b64 s[94:95], s[94:95], exec
	s_and_saveexec_b64 s[34:35], s[30:31]
	s_cbranch_execz .LBB4_912
	s_branch .LBB4_916
.LBB4_915:                              ;   in Loop: Header=BB4_913 Depth=3
	s_trap 2
	ds_read_b64 v[4:5], v0
	s_andn2_b64 s[30:31], s[30:31], exec
	s_mov_b32 s36, 0
	s_waitcnt lgkmcnt(0)
	flat_load_dword v0, v[4:5] glc
	s_waitcnt vmcnt(0) lgkmcnt(0)
	buffer_wbinvl1_vol
	v_cmp_eq_u32_e32 vcc, 0, v0
	s_and_b64 vcc, vcc, exec
	s_or_b64 s[30:31], s[30:31], vcc
	s_mov_b64 vcc, -1
	s_or_b64 s[94:95], s[94:95], exec
	s_and_saveexec_b64 s[34:35], s[30:31]
	s_cbranch_execz .LBB4_912
.LBB4_916:                              ;   in Loop: Header=BB4_913 Depth=3
	s_sleep 1
	s_trap 2
	ds_read_b64 v[4:5], v0
	s_waitcnt lgkmcnt(0)
	s_andn2_b64 s[94:95], s[94:95], exec
	v_cmp_ge_u64_e32 vcc, v[4:5], v[14:15]
	s_orn2_b64 vcc, vcc, exec
	s_branch .LBB4_912
.LBB4_917:                              ;   in Loop: Header=BB4_808 Depth=2
	s_or_b64 exec, exec, s[90:91]
	s_and_saveexec_b64 s[90:91], s[92:93]
	s_xor_b64 s[90:91], exec, s[90:91]
	s_cbranch_execz .LBB4_919
; %bb.918:                              ;   in Loop: Header=BB4_808 Depth=2
	ds_write_b32 v0, v10
	s_trap 2
.LBB4_919:                              ;   in Loop: Header=BB4_808 Depth=2
	s_or_b64 exec, exec, s[88:89]
	;;#ASMSTART
	s_wakeup
	;;#ASMEND
.LBB4_920:                              ;   in Loop: Header=BB4_808 Depth=2
	s_or_b64 exec, exec, s[78:79]
.LBB4_921:                              ;   in Loop: Header=BB4_808 Depth=2
	s_andn2_saveexec_b64 s[76:77], s[76:77]
	s_cbranch_execz .LBB4_923
; %bb.922:                              ;   in Loop: Header=BB4_808 Depth=2
	s_waitcnt vmcnt(0) lgkmcnt(0)
	buffer_wbinvl1_vol
	s_barrier
.LBB4_923:                              ;   in Loop: Header=BB4_808 Depth=2
	s_or_b64 exec, exec, s[76:77]
	s_or_b64 exec, exec, s[74:75]
	s_and_saveexec_b64 s[74:75], s[18:19]
	s_xor_b64 s[74:75], exec, s[74:75]
	s_cbranch_execnz .LBB4_880
.LBB4_924:                              ;   in Loop: Header=BB4_808 Depth=2
	s_andn2_saveexec_b64 s[26:27], s[74:75]
	s_cbranch_execz .LBB4_943
.LBB4_925:                              ;   in Loop: Header=BB4_808 Depth=2
	s_and_saveexec_b64 s[74:75], s[58:59]
	s_xor_b64 s[74:75], exec, s[74:75]
	s_cbranch_execz .LBB4_940
; %bb.926:                              ;   in Loop: Header=BB4_808 Depth=2
	s_and_saveexec_b64 s[76:77], s[6:7]
	s_cbranch_execz .LBB4_939
; %bb.927:                              ;   in Loop: Header=BB4_808 Depth=2
	s_mov_b64 s[88:89], exec
	v_mbcnt_lo_u32_b32 v0, s88, 0
	v_mbcnt_hi_u32_b32 v0, s89, v0
	v_cmp_eq_u32_e32 vcc, 0, v0
	;;#ASMSTART
	s_waitcnt lgkmcnt(0) vmcnt(0)
	;;#ASMEND
	s_and_saveexec_b64 s[78:79], vcc
	s_cbranch_execz .LBB4_929
; %bb.928:                              ;   in Loop: Header=BB4_808 Depth=2
	s_bcnt1_i32_b64 s88, s[88:89]
	v_mov_b32_e32 v34, s88
	s_waitcnt lgkmcnt(0)
	ds_add_u64 v0, v[34:35]
	s_trap 2
.LBB4_929:                              ;   in Loop: Header=BB4_808 Depth=2
	s_or_b64 exec, exec, s[78:79]
	s_trap 2
	ds_read_b64 v[4:5], v0
	s_waitcnt lgkmcnt(0)
	v_add_co_u32_e32 v14, vcc, v14, v20
	v_addc_co_u32_e32 v15, vcc, 0, v15, vcc
	v_cmp_lt_u64_e32 vcc, v[4:5], v[14:15]
	s_and_saveexec_b64 s[78:79], vcc
	s_cbranch_execz .LBB4_938
; %bb.930:                              ;   in Loop: Header=BB4_808 Depth=2
	s_mov_b32 s34, 0
	s_mov_b64 s[88:89], 0
                                        ; implicit-def: $sgpr90_sgpr91
                                        ; implicit-def: $sgpr92_sgpr93
	s_branch .LBB4_932
.LBB4_931:                              ;   in Loop: Header=BB4_932 Depth=3
	s_or_b64 exec, exec, s[30:31]
	s_and_b64 s[94:95], exec, vcc
	s_or_b64 s[88:89], s[94:95], s[88:89]
	s_andn2_b64 s[90:91], s[90:91], exec
	s_and_b64 s[94:95], s[92:93], exec
	s_or_b64 s[90:91], s[90:91], s[94:95]
	s_andn2_b64 exec, exec, s[88:89]
	s_cbranch_execz .LBB4_936
.LBB4_932:                              ;   Parent Loop BB4_73 Depth=1
                                        ;     Parent Loop BB4_808 Depth=2
                                        ; =>    This Inner Loop Header: Depth=3
	s_add_i32 s34, s34, 1
	s_cmpk_lg_i32 s34, 0x2710
	s_cselect_b64 s[94:95], -1, 0
	s_and_b64 vcc, exec, s[94:95]
	s_cbranch_vccz .LBB4_934
; %bb.933:                              ;   in Loop: Header=BB4_932 Depth=3
	s_mov_b64 vcc, -1
	s_or_b64 s[92:93], s[92:93], exec
	s_and_saveexec_b64 s[30:31], s[94:95]
	s_cbranch_execz .LBB4_931
	s_branch .LBB4_935
.LBB4_934:                              ;   in Loop: Header=BB4_932 Depth=3
	s_trap 2
	ds_read_b64 v[4:5], v0
	s_andn2_b64 s[94:95], s[94:95], exec
	s_mov_b32 s34, 0
	s_waitcnt vmcnt(0) lgkmcnt(0)
	flat_load_dword v0, v[4:5] glc
	s_waitcnt vmcnt(0) lgkmcnt(0)
	buffer_wbinvl1_vol
	v_cmp_eq_u32_e32 vcc, 0, v0
	s_and_b64 vcc, vcc, exec
	s_or_b64 s[94:95], s[94:95], vcc
	s_mov_b64 vcc, -1
	s_or_b64 s[92:93], s[92:93], exec
	s_and_saveexec_b64 s[30:31], s[94:95]
	s_cbranch_execz .LBB4_931
.LBB4_935:                              ;   in Loop: Header=BB4_932 Depth=3
	s_sleep 1
	s_trap 2
	ds_read_b64 v[4:5], v0
	s_waitcnt lgkmcnt(0)
	s_andn2_b64 s[92:93], s[92:93], exec
	v_cmp_ge_u64_e32 vcc, v[4:5], v[14:15]
	s_orn2_b64 vcc, vcc, exec
	s_branch .LBB4_931
.LBB4_936:                              ;   in Loop: Header=BB4_808 Depth=2
	s_or_b64 exec, exec, s[88:89]
	s_and_saveexec_b64 s[88:89], s[90:91]
	s_xor_b64 s[88:89], exec, s[88:89]
	s_cbranch_execz .LBB4_938
; %bb.937:                              ;   in Loop: Header=BB4_808 Depth=2
	ds_write_b32 v0, v10
	s_trap 2
.LBB4_938:                              ;   in Loop: Header=BB4_808 Depth=2
	s_or_b64 exec, exec, s[78:79]
	;;#ASMSTART
	s_wakeup
	;;#ASMEND
.LBB4_939:                              ;   in Loop: Header=BB4_808 Depth=2
	s_or_b64 exec, exec, s[76:77]
.LBB4_940:                              ;   in Loop: Header=BB4_808 Depth=2
	s_andn2_saveexec_b64 s[74:75], s[74:75]
	s_cbranch_execz .LBB4_942
; %bb.941:                              ;   in Loop: Header=BB4_808 Depth=2
	;;#ASMSTART
	s_waitcnt lgkmcnt(0) vmcnt(0)
	;;#ASMEND
	s_waitcnt vmcnt(0) lgkmcnt(0)
	s_barrier
.LBB4_942:                              ;   in Loop: Header=BB4_808 Depth=2
	s_or_b64 exec, exec, s[74:75]
.LBB4_943:                              ;   in Loop: Header=BB4_808 Depth=2
	s_or_b64 exec, exec, s[26:27]
	v_and_b32_e32 v0, 32, v57
	v_cmp_ne_u32_e32 vcc, 0, v0
	s_and_saveexec_b64 s[26:27], vcc
	s_cbranch_execz .LBB4_807
; %bb.944:                              ;   in Loop: Header=BB4_808 Depth=2
	v_add_co_u32_e32 v50, vcc, 2, v50
	v_addc_co_u32_e32 v51, vcc, 0, v51, vcc
	flat_store_dwordx2 v[24:25], v[50:51]
	s_branch .LBB4_807
.LBB4_945:                              ;   in Loop: Header=BB4_73 Depth=1
	s_or_b64 exec, exec, s[40:41]
.LBB4_946:                              ;   in Loop: Header=BB4_73 Depth=1
	s_or_b64 exec, exec, s[28:29]
	v_cmp_gt_i32_e32 vcc, 2, v0
	s_and_saveexec_b64 s[28:29], vcc
	s_cbranch_execz .LBB4_72
; %bb.947:                              ;   in Loop: Header=BB4_73 Depth=1
	v_cmp_eq_u32_e64 s[42:43], 0, v0
	s_mov_b64 s[40:41], 0
	s_branch .LBB4_949
.LBB4_948:                              ;   in Loop: Header=BB4_949 Depth=2
	s_or_b64 exec, exec, s[26:27]
	v_add_u32_e32 v17, v41, v17
	s_mov_b64 s[42:43], 0
	s_andn2_b64 exec, exec, s[40:41]
	s_cbranch_execz .LBB4_71
.LBB4_949:                              ;   Parent Loop BB4_73 Depth=1
                                        ; =>  This Loop Header: Depth=2
                                        ;       Child Loop BB4_955 Depth 3
                                        ;       Child Loop BB4_979 Depth 3
                                        ;       Child Loop BB4_1002 Depth 3
	v_and_b32_e32 v0, 4, v57
	v_cmp_ne_u32_e32 vcc, 0, v0
	s_and_saveexec_b64 s[74:75], vcc
	s_cbranch_execz .LBB4_971
; %bb.950:                              ;   in Loop: Header=BB4_949 Depth=2
	v_add_co_u32_e32 v2, vcc, 2, v50
	v_addc_co_u32_e32 v3, vcc, 0, v51, vcc
	s_waitcnt vmcnt(0) lgkmcnt(0)
	v_cmp_lt_u64_e32 vcc, v[32:33], v[2:3]
	s_and_saveexec_b64 s[76:77], vcc
	s_cbranch_execz .LBB4_962
; %bb.951:                              ;   in Loop: Header=BB4_949 Depth=2
	v_and_b32_e32 v0, 64, v57
	s_mov_b32 s48, 0
	v_cmp_eq_u32_e32 vcc, 0, v0
	s_mov_b64 s[78:79], 0
                                        ; implicit-def: $sgpr88_sgpr89
                                        ; implicit-def: $sgpr90_sgpr91
                                        ; implicit-def: $sgpr92_sgpr93
	s_branch .LBB4_955
.LBB4_952:                              ;   in Loop: Header=BB4_955 Depth=3
	s_waitcnt vmcnt(0) lgkmcnt(0)
	v_cmp_ge_u64_e64 s[26:27], v[32:33], v[2:3]
	s_or_b64 s[34:35], s[34:35], exec
	s_orn2_b64 s[30:31], s[26:27], exec
.LBB4_953:                              ;   in Loop: Header=BB4_955 Depth=3
	s_or_b64 exec, exec, s[38:39]
	s_andn2_b64 s[26:27], s[92:93], exec
	s_and_b64 s[92:93], s[34:35], exec
	s_or_b64 s[92:93], s[26:27], s[92:93]
	s_andn2_b64 s[26:27], s[90:91], exec
	s_and_b64 s[90:91], s[30:31], exec
	s_or_b64 s[90:91], s[26:27], s[90:91]
.LBB4_954:                              ;   in Loop: Header=BB4_955 Depth=3
	s_or_b64 exec, exec, s[94:95]
	s_and_b64 s[26:27], exec, s[90:91]
	s_or_b64 s[78:79], s[26:27], s[78:79]
	s_andn2_b64 s[26:27], s[88:89], exec
	s_and_b64 s[88:89], s[92:93], exec
	s_or_b64 s[88:89], s[26:27], s[88:89]
	s_andn2_b64 exec, exec, s[78:79]
	s_cbranch_execz .LBB4_959
.LBB4_955:                              ;   Parent Loop BB4_73 Depth=1
                                        ;     Parent Loop BB4_949 Depth=2
                                        ; =>    This Inner Loop Header: Depth=3
	s_sleep 1
	s_waitcnt vmcnt(0) lgkmcnt(0)
	flat_load_dwordx2 v[32:33], v[24:25] glc
	s_or_b64 s[92:93], s[92:93], exec
	s_or_b64 s[90:91], s[90:91], exec
                                        ; implicit-def: $vgpr0
	s_and_saveexec_b64 s[94:95], vcc
	s_cbranch_execz .LBB4_954
; %bb.956:                              ;   in Loop: Header=BB4_955 Depth=3
	s_cmpk_lt_i32 s48, 0x270f
	s_cselect_b64 s[36:37], -1, 0
	s_cmpk_gt_i32 s48, 0x270e
	s_mov_b64 s[30:31], -1
	s_cbranch_scc0 .LBB4_958
; %bb.957:                              ;   in Loop: Header=BB4_955 Depth=3
	s_trap 2
	ds_read_b64 v[4:5], v0
	s_andn2_b64 s[36:37], s[36:37], exec
	s_mov_b32 s48, 0
	s_mov_b64 s[34:35], 0
	s_waitcnt vmcnt(0) lgkmcnt(0)
	flat_load_dword v0, v[4:5] glc
	s_waitcnt vmcnt(0) lgkmcnt(0)
	buffer_wbinvl1_vol
	v_cmp_eq_u32_e64 s[26:27], 0, v0
	s_and_b64 s[26:27], s[26:27], exec
	s_or_b64 s[36:37], s[36:37], s[26:27]
	s_and_saveexec_b64 s[38:39], s[36:37]
	s_cbranch_execz .LBB4_953
	s_branch .LBB4_952
.LBB4_958:                              ;   in Loop: Header=BB4_955 Depth=3
	s_add_i32 s48, s48, 1
	s_mov_b64 s[34:35], -1
                                        ; implicit-def: $vgpr0
	s_and_saveexec_b64 s[38:39], s[36:37]
	s_cbranch_execz .LBB4_953
	s_branch .LBB4_952
.LBB4_959:                              ;   in Loop: Header=BB4_949 Depth=2
	s_or_b64 exec, exec, s[78:79]
	s_xor_b64 s[26:27], s[88:89], -1
	s_and_saveexec_b64 s[78:79], s[26:27]
	s_xor_b64 s[26:27], exec, s[78:79]
	s_cbranch_execz .LBB4_961
; %bb.960:                              ;   in Loop: Header=BB4_949 Depth=2
	v_or_b32_e32 v57, 64, v57
	s_waitcnt lgkmcnt(0)
	ds_write_b32 v0, v0
	s_trap 2
.LBB4_961:                              ;   in Loop: Header=BB4_949 Depth=2
	s_or_b64 exec, exec, s[26:27]
.LBB4_962:                              ;   in Loop: Header=BB4_949 Depth=2
	s_or_b64 exec, exec, s[76:77]
	v_and_b32_e32 v0, 0x100, v57
	v_cmp_ne_u32_e32 vcc, 0, v0
	v_and_b32_e32 v0, 7, v50
	s_mov_b64 s[26:27], -1
	;;#ASMSTART
	s_wakeup
	;;#ASMEND
                                        ; implicit-def: $vgpr4_vgpr5
	s_and_saveexec_b64 s[76:77], vcc
	s_cbranch_execz .LBB4_966
; %bb.963:                              ;   in Loop: Header=BB4_949 Depth=2
	v_mad_u64_u32 v[50:51], s[26:27], v0, 24, v[12:13]
	flat_load_dword v4, v[50:51]
	s_waitcnt vmcnt(0) lgkmcnt(0)
	v_cmp_ne_u32_e32 vcc, 1, v4
	v_cmp_eq_u32_e64 s[26:27], 1, v4
                                        ; implicit-def: $vgpr4_vgpr5
	s_and_saveexec_b64 s[78:79], s[26:27]
	s_cbranch_execz .LBB4_965
; %bb.964:                              ;   in Loop: Header=BB4_949 Depth=2
	flat_load_dword v4, v[50:51] offset:4 glc
	s_waitcnt vmcnt(0) lgkmcnt(0)
	v_ashrrev_i32_e32 v5, 31, v4
.LBB4_965:                              ;   in Loop: Header=BB4_949 Depth=2
	s_or_b64 exec, exec, s[78:79]
	s_orn2_b64 s[26:27], vcc, exec
.LBB4_966:                              ;   in Loop: Header=BB4_949 Depth=2
	s_or_b64 exec, exec, s[76:77]
	s_and_saveexec_b64 s[76:77], s[26:27]
; %bb.967:                              ;   in Loop: Header=BB4_949 Depth=2
	v_mad_i64_i32 v[4:5], s[26:27], v0, v60, 0
; %bb.968:                              ;   in Loop: Header=BB4_949 Depth=2
	s_or_b64 exec, exec, s[76:77]
	v_add_co_u32_e32 v4, vcc, v26, v4
	v_addc_co_u32_e32 v5, vcc, v27, v5, vcc
	ds_write_b64 v0, v[4:5] offset:720
	v_and_b32_e32 v0, 0x2000, v57
	v_cmp_ne_u32_e32 vcc, 0, v0
	s_and_saveexec_b64 s[26:27], vcc
	s_cbranch_execz .LBB4_970
; %bb.969:                              ;   in Loop: Header=BB4_949 Depth=2
	ds_read_b64 v[4:5], v0 offset:872
	s_waitcnt lgkmcnt(0)
	v_add_co_u32_e32 v4, vcc, 1, v4
	v_addc_co_u32_e32 v5, vcc, 0, v5, vcc
	ds_write_b64 v0, v[4:5] offset:872
.LBB4_970:                              ;   in Loop: Header=BB4_949 Depth=2
	s_or_b64 exec, exec, s[26:27]
	v_mov_b32_e32 v51, v3
	v_mov_b32_e32 v50, v2
.LBB4_971:                              ;   in Loop: Header=BB4_949 Depth=2
	s_or_b64 exec, exec, s[74:75]
	s_xor_b64 s[26:27], s[42:43], -1
	s_and_b64 s[26:27], exec, s[26:27]
	s_or_b64 s[40:41], s[26:27], s[40:41]
	s_and_saveexec_b64 s[26:27], s[12:13]
	s_cbranch_execz .LBB4_990
; %bb.972:                              ;   in Loop: Header=BB4_949 Depth=2
	s_and_saveexec_b64 s[42:43], s[58:59]
	s_xor_b64 s[42:43], exec, s[42:43]
	s_cbranch_execz .LBB4_987
; %bb.973:                              ;   in Loop: Header=BB4_949 Depth=2
	s_and_saveexec_b64 s[74:75], s[6:7]
	s_cbranch_execz .LBB4_986
; %bb.974:                              ;   in Loop: Header=BB4_949 Depth=2
	s_mov_b64 s[78:79], exec
	v_mbcnt_lo_u32_b32 v0, s78, 0
	v_mbcnt_hi_u32_b32 v0, s79, v0
	v_cmp_eq_u32_e32 vcc, 0, v0
	s_waitcnt vmcnt(0) lgkmcnt(0)
	buffer_wbinvl1_vol
	s_and_saveexec_b64 s[76:77], vcc
	s_cbranch_execz .LBB4_976
; %bb.975:                              ;   in Loop: Header=BB4_949 Depth=2
	s_bcnt1_i32_b64 s78, s[78:79]
	v_mov_b32_e32 v34, s78
	ds_add_u64 v0, v[34:35]
	s_trap 2
.LBB4_976:                              ;   in Loop: Header=BB4_949 Depth=2
	s_or_b64 exec, exec, s[76:77]
	s_trap 2
	ds_read_b64 v[2:3], v0
	s_waitcnt lgkmcnt(0)
	v_add_co_u32_e32 v14, vcc, v14, v20
	v_addc_co_u32_e32 v15, vcc, 0, v15, vcc
	v_cmp_lt_u64_e32 vcc, v[2:3], v[14:15]
	s_and_saveexec_b64 s[76:77], vcc
	s_cbranch_execz .LBB4_985
; %bb.977:                              ;   in Loop: Header=BB4_949 Depth=2
	s_mov_b32 s30, 0
	s_mov_b64 s[78:79], 0
                                        ; implicit-def: $sgpr88_sgpr89
                                        ; implicit-def: $sgpr90_sgpr91
	s_branch .LBB4_979
.LBB4_978:                              ;   in Loop: Header=BB4_979 Depth=3
	s_or_b64 exec, exec, s[94:95]
	s_and_b64 s[92:93], exec, vcc
	s_or_b64 s[78:79], s[92:93], s[78:79]
	s_andn2_b64 s[88:89], s[88:89], exec
	s_and_b64 s[92:93], s[90:91], exec
	s_or_b64 s[88:89], s[88:89], s[92:93]
	s_andn2_b64 exec, exec, s[78:79]
	s_cbranch_execz .LBB4_983
.LBB4_979:                              ;   Parent Loop BB4_73 Depth=1
                                        ;     Parent Loop BB4_949 Depth=2
                                        ; =>    This Inner Loop Header: Depth=3
	s_add_i32 s30, s30, 1
	s_cmpk_lg_i32 s30, 0x2710
	s_cselect_b64 s[92:93], -1, 0
	s_and_b64 vcc, exec, s[92:93]
	s_cbranch_vccz .LBB4_981
; %bb.980:                              ;   in Loop: Header=BB4_979 Depth=3
	s_mov_b64 vcc, -1
	s_or_b64 s[90:91], s[90:91], exec
	s_and_saveexec_b64 s[94:95], s[92:93]
	s_cbranch_execz .LBB4_978
	s_branch .LBB4_982
.LBB4_981:                              ;   in Loop: Header=BB4_979 Depth=3
	s_trap 2
	ds_read_b64 v[2:3], v0
	s_andn2_b64 s[92:93], s[92:93], exec
	s_mov_b32 s30, 0
	s_waitcnt lgkmcnt(0)
	flat_load_dword v0, v[2:3] glc
	s_waitcnt vmcnt(0) lgkmcnt(0)
	buffer_wbinvl1_vol
	v_cmp_eq_u32_e32 vcc, 0, v0
	s_and_b64 s[94:95], vcc, exec
	s_or_b64 s[92:93], s[92:93], s[94:95]
	s_mov_b64 vcc, -1
	s_or_b64 s[90:91], s[90:91], exec
	s_and_saveexec_b64 s[94:95], s[92:93]
	s_cbranch_execz .LBB4_978
.LBB4_982:                              ;   in Loop: Header=BB4_979 Depth=3
	s_sleep 1
	s_trap 2
	ds_read_b64 v[2:3], v0
	s_waitcnt lgkmcnt(0)
	s_andn2_b64 s[90:91], s[90:91], exec
	v_cmp_ge_u64_e32 vcc, v[2:3], v[14:15]
	s_orn2_b64 vcc, vcc, exec
	s_branch .LBB4_978
.LBB4_983:                              ;   in Loop: Header=BB4_949 Depth=2
	s_or_b64 exec, exec, s[78:79]
	s_and_saveexec_b64 s[78:79], s[88:89]
	s_xor_b64 s[78:79], exec, s[78:79]
	s_cbranch_execz .LBB4_985
; %bb.984:                              ;   in Loop: Header=BB4_949 Depth=2
	ds_write_b32 v0, v10
	s_trap 2
.LBB4_985:                              ;   in Loop: Header=BB4_949 Depth=2
	s_or_b64 exec, exec, s[76:77]
	;;#ASMSTART
	s_wakeup
	;;#ASMEND
.LBB4_986:                              ;   in Loop: Header=BB4_949 Depth=2
	s_or_b64 exec, exec, s[74:75]
.LBB4_987:                              ;   in Loop: Header=BB4_949 Depth=2
	s_andn2_saveexec_b64 s[42:43], s[42:43]
	s_cbranch_execz .LBB4_989
; %bb.988:                              ;   in Loop: Header=BB4_949 Depth=2
	s_waitcnt vmcnt(0) lgkmcnt(0)
	buffer_wbinvl1_vol
	s_barrier
.LBB4_989:                              ;   in Loop: Header=BB4_949 Depth=2
	s_or_b64 exec, exec, s[42:43]
.LBB4_990:                              ;   in Loop: Header=BB4_949 Depth=2
	s_or_b64 exec, exec, s[26:27]
	v_sub_u32_e32 v0, v22, v17
	s_waitcnt vmcnt(0)
	v_min_i32_e32 v41, v41, v0
	s_and_saveexec_b64 s[26:27], s[18:19]
	s_xor_b64 s[26:27], exec, s[26:27]
	s_cbranch_execz .LBB4_994
; %bb.991:                              ;   in Loop: Header=BB4_949 Depth=2
	s_trap 2
	ds_read_b32 v0, v0
	v_cmp_lt_i32_e32 vcc, 0, v41
	s_waitcnt lgkmcnt(0)
	v_readfirstlane_b32 s42, v0
	s_cmp_eq_u32 s42, 0
	s_cselect_b64 s[42:43], -1, 0
	v_and_b32_e32 v0, 16, v57
	s_and_b64 s[42:43], vcc, s[42:43]
	v_cmp_ne_u32_e32 vcc, 0, v0
	s_and_b64 s[74:75], vcc, s[42:43]
	s_and_saveexec_b64 s[42:43], s[74:75]
	s_cbranch_execz .LBB4_993
; %bb.992:                              ;   in Loop: Header=BB4_949 Depth=2
	buffer_wbinvl1_vol
.LBB4_993:                              ;   in Loop: Header=BB4_949 Depth=2
	s_or_b64 exec, exec, s[42:43]
.LBB4_994:                              ;   in Loop: Header=BB4_949 Depth=2
	s_andn2_saveexec_b64 s[26:27], s[26:27]
	s_cbranch_execz .LBB4_1013
; %bb.995:                              ;   in Loop: Header=BB4_949 Depth=2
	s_and_saveexec_b64 s[42:43], s[58:59]
	s_xor_b64 s[42:43], exec, s[42:43]
	s_cbranch_execz .LBB4_1010
; %bb.996:                              ;   in Loop: Header=BB4_949 Depth=2
	s_and_saveexec_b64 s[74:75], s[6:7]
	s_cbranch_execz .LBB4_1009
; %bb.997:                              ;   in Loop: Header=BB4_949 Depth=2
	s_mov_b64 s[78:79], exec
	v_mbcnt_lo_u32_b32 v0, s78, 0
	v_mbcnt_hi_u32_b32 v0, s79, v0
	v_cmp_eq_u32_e32 vcc, 0, v0
	;;#ASMSTART
	s_waitcnt lgkmcnt(0) vmcnt(0)
	;;#ASMEND
	s_and_saveexec_b64 s[76:77], vcc
	s_cbranch_execz .LBB4_999
; %bb.998:                              ;   in Loop: Header=BB4_949 Depth=2
	s_bcnt1_i32_b64 s78, s[78:79]
	v_mov_b32_e32 v34, s78
	s_waitcnt lgkmcnt(0)
	ds_add_u64 v0, v[34:35]
	s_trap 2
.LBB4_999:                              ;   in Loop: Header=BB4_949 Depth=2
	s_or_b64 exec, exec, s[76:77]
	s_trap 2
	ds_read_b64 v[2:3], v0
	s_waitcnt lgkmcnt(0)
	v_add_co_u32_e32 v14, vcc, v14, v20
	v_addc_co_u32_e32 v15, vcc, 0, v15, vcc
	v_cmp_lt_u64_e32 vcc, v[2:3], v[14:15]
	s_and_saveexec_b64 s[76:77], vcc
	s_cbranch_execz .LBB4_1008
; %bb.1000:                             ;   in Loop: Header=BB4_949 Depth=2
	s_mov_b32 s30, 0
	s_mov_b64 s[78:79], 0
                                        ; implicit-def: $sgpr88_sgpr89
                                        ; implicit-def: $sgpr90_sgpr91
	s_branch .LBB4_1002
.LBB4_1001:                             ;   in Loop: Header=BB4_1002 Depth=3
	s_or_b64 exec, exec, s[94:95]
	s_and_b64 s[92:93], exec, vcc
	s_or_b64 s[78:79], s[92:93], s[78:79]
	s_andn2_b64 s[88:89], s[88:89], exec
	s_and_b64 s[92:93], s[90:91], exec
	s_or_b64 s[88:89], s[88:89], s[92:93]
	s_andn2_b64 exec, exec, s[78:79]
	s_cbranch_execz .LBB4_1006
.LBB4_1002:                             ;   Parent Loop BB4_73 Depth=1
                                        ;     Parent Loop BB4_949 Depth=2
                                        ; =>    This Inner Loop Header: Depth=3
	s_add_i32 s30, s30, 1
	s_cmpk_lg_i32 s30, 0x2710
	s_cselect_b64 s[92:93], -1, 0
	s_and_b64 vcc, exec, s[92:93]
	s_cbranch_vccz .LBB4_1004
; %bb.1003:                             ;   in Loop: Header=BB4_1002 Depth=3
	s_mov_b64 vcc, -1
	s_or_b64 s[90:91], s[90:91], exec
	s_and_saveexec_b64 s[94:95], s[92:93]
	s_cbranch_execz .LBB4_1001
	s_branch .LBB4_1005
.LBB4_1004:                             ;   in Loop: Header=BB4_1002 Depth=3
	s_trap 2
	ds_read_b64 v[2:3], v0
	s_andn2_b64 s[92:93], s[92:93], exec
	s_mov_b32 s30, 0
	s_waitcnt lgkmcnt(0)
	flat_load_dword v0, v[2:3] glc
	s_waitcnt vmcnt(0) lgkmcnt(0)
	buffer_wbinvl1_vol
	v_cmp_eq_u32_e32 vcc, 0, v0
	s_and_b64 s[94:95], vcc, exec
	s_or_b64 s[92:93], s[92:93], s[94:95]
	s_mov_b64 vcc, -1
	s_or_b64 s[90:91], s[90:91], exec
	s_and_saveexec_b64 s[94:95], s[92:93]
	s_cbranch_execz .LBB4_1001
.LBB4_1005:                             ;   in Loop: Header=BB4_1002 Depth=3
	s_sleep 1
	s_trap 2
	ds_read_b64 v[2:3], v0
	s_waitcnt lgkmcnt(0)
	s_andn2_b64 s[90:91], s[90:91], exec
	v_cmp_ge_u64_e32 vcc, v[2:3], v[14:15]
	s_orn2_b64 vcc, vcc, exec
	s_branch .LBB4_1001
.LBB4_1006:                             ;   in Loop: Header=BB4_949 Depth=2
	s_or_b64 exec, exec, s[78:79]
	s_and_saveexec_b64 s[78:79], s[88:89]
	s_xor_b64 s[78:79], exec, s[78:79]
	s_cbranch_execz .LBB4_1008
; %bb.1007:                             ;   in Loop: Header=BB4_949 Depth=2
	ds_write_b32 v0, v10
	s_trap 2
.LBB4_1008:                             ;   in Loop: Header=BB4_949 Depth=2
	s_or_b64 exec, exec, s[76:77]
	;;#ASMSTART
	s_wakeup
	;;#ASMEND
.LBB4_1009:                             ;   in Loop: Header=BB4_949 Depth=2
	s_or_b64 exec, exec, s[74:75]
.LBB4_1010:                             ;   in Loop: Header=BB4_949 Depth=2
	s_andn2_saveexec_b64 s[42:43], s[42:43]
	s_cbranch_execz .LBB4_1012
; %bb.1011:                             ;   in Loop: Header=BB4_949 Depth=2
	;;#ASMSTART
	s_waitcnt lgkmcnt(0) vmcnt(0)
	;;#ASMEND
	s_waitcnt lgkmcnt(0)
	s_barrier
.LBB4_1012:                             ;   in Loop: Header=BB4_949 Depth=2
	s_or_b64 exec, exec, s[42:43]
.LBB4_1013:                             ;   in Loop: Header=BB4_949 Depth=2
	s_or_b64 exec, exec, s[26:27]
	v_and_b32_e32 v0, 32, v57
	v_cmp_ne_u32_e32 vcc, 0, v0
	s_and_saveexec_b64 s[26:27], vcc
	s_cbranch_execz .LBB4_948
; %bb.1014:                             ;   in Loop: Header=BB4_949 Depth=2
	v_add_co_u32_e32 v50, vcc, 2, v50
	v_addc_co_u32_e32 v51, vcc, 0, v51, vcc
	flat_store_dwordx2 v[24:25], v[50:51]
	s_branch .LBB4_948
.LBB4_1015:
	s_or_b64 exec, exec, s[60:61]
	buffer_load_dword v16, off, s[0:3], s33 offset:188 ; 4-byte Folded Reload
	buffer_load_dword v31, off, s[0:3], s33 offset:192 ; 4-byte Folded Reload
	buffer_load_dword v17, off, s[0:3], s33 offset:196 ; 4-byte Folded Reload
	buffer_load_dword v21, off, s[0:3], s33 offset:200 ; 4-byte Folded Reload
	buffer_load_dword v22, off, s[0:3], s33 offset:204 ; 4-byte Folded Reload
.LBB4_1016:
	s_or_b64 exec, exec, s[56:57]
	v_and_b32_e32 v0, 0x800, v57
	v_cmp_eq_u32_e32 vcc, 0, v0
	s_and_saveexec_b64 s[6:7], vcc
	s_cbranch_execz .LBB4_1049
; %bb.1017:
	v_and_b32_e32 v0, 48, v57
	v_cmp_ne_u32_e32 vcc, 0, v0
	s_and_saveexec_b64 s[4:5], vcc
	s_cbranch_execz .LBB4_1019
; %bb.1018:
	s_waitcnt vmcnt(0)
	flat_store_dwordx2 v[21:22], v[50:51] offset:104
.LBB4_1019:
	s_or_b64 exec, exec, s[4:5]
	s_movk_i32 s4, 0x88
	v_and_b32_e32 v0, 0x88, v57
	v_cmp_eq_u32_e32 vcc, s4, v0
	s_and_saveexec_b64 s[10:11], vcc
	s_cbranch_execz .LBB4_1029
; %bb.1020:
	v_add_u32_e32 v0, 6, v50
	v_and_b32_e32 v0, 7, v0
	v_mad_u64_u32 v[2:3], s[4:5], v0, 24, v[12:13]
	v_and_b32_e32 v4, 64, v57
	v_cmp_eq_u32_e64 s[4:5], 0, v4
	flat_load_dwordx2 v[0:1], v[2:3] offset:8 glc
	s_waitcnt vmcnt(0)
	s_mov_b32 s22, 0
	s_waitcnt lgkmcnt(0)
	v_cmp_ne_u64_e32 vcc, -1, v[0:1]
	s_and_b64 s[4:5], vcc, s[4:5]
	s_and_b64 exec, exec, s[4:5]
	s_cbranch_execz .LBB4_1029
; %bb.1021:
	s_mov_b64 s[4:5], 0
                                        ; implicit-def: $sgpr12_sgpr13
                                        ; implicit-def: $sgpr14_sgpr15
	s_branch .LBB4_1024
.LBB4_1022:                             ;   in Loop: Header=BB4_1024 Depth=1
	flat_load_dwordx2 v[4:5], v[2:3] offset:8 glc
	s_waitcnt vmcnt(0)
	s_andn2_b64 s[14:15], s[14:15], exec
	s_waitcnt lgkmcnt(0)
	v_cmp_eq_u64_e32 vcc, -1, v[4:5]
	s_orn2_b64 s[18:19], vcc, exec
.LBB4_1023:                             ;   in Loop: Header=BB4_1024 Depth=1
	s_or_b64 exec, exec, s[20:21]
	s_and_b64 s[16:17], exec, s[18:19]
	s_or_b64 s[4:5], s[16:17], s[4:5]
	s_andn2_b64 s[12:13], s[12:13], exec
	s_and_b64 s[16:17], s[14:15], exec
	s_or_b64 s[12:13], s[12:13], s[16:17]
	s_andn2_b64 exec, exec, s[4:5]
	s_cbranch_execz .LBB4_1027
.LBB4_1024:                             ; =>This Inner Loop Header: Depth=1
	s_cmpk_lt_i32 s22, 0x270f
	s_cselect_b64 s[16:17], -1, 0
	s_and_b64 vcc, exec, s[16:17]
	s_cbranch_vccnz .LBB4_1026
; %bb.1025:                             ;   in Loop: Header=BB4_1024 Depth=1
	s_trap 2
	ds_read_b64 v[0:1], v0
	s_andn2_b64 s[16:17], s[16:17], exec
	s_mov_b32 s22, 0
	s_waitcnt lgkmcnt(0)
	flat_load_dword v0, v[0:1] glc
	s_waitcnt vmcnt(0) lgkmcnt(0)
	buffer_wbinvl1_vol
	v_cmp_eq_u32_e32 vcc, 0, v0
	s_and_b64 s[18:19], vcc, exec
	s_or_b64 s[16:17], s[16:17], s[18:19]
	s_mov_b64 s[18:19], -1
	s_or_b64 s[14:15], s[14:15], exec
	s_and_saveexec_b64 s[20:21], s[16:17]
	s_cbranch_execz .LBB4_1023
	s_branch .LBB4_1022
.LBB4_1026:                             ;   in Loop: Header=BB4_1024 Depth=1
	s_add_i32 s22, s22, 1
                                        ; implicit-def: $vgpr0
	s_mov_b64 s[18:19], -1
	s_or_b64 s[14:15], s[14:15], exec
	s_and_saveexec_b64 s[20:21], s[16:17]
	s_cbranch_execz .LBB4_1023
	s_branch .LBB4_1022
.LBB4_1027:
	s_or_b64 exec, exec, s[4:5]
	s_and_saveexec_b64 s[4:5], s[12:13]
	s_xor_b64 s[4:5], exec, s[4:5]
	s_cbranch_execz .LBB4_1029
; %bb.1028:
	ds_write_b32 v0, v0
	s_trap 2
.LBB4_1029:
	s_or_b64 exec, exec, s[10:11]
	v_and_b32_e32 v0, 0x2000, v57
	v_cmp_ne_u32_e32 vcc, 0, v0
	s_and_saveexec_b64 s[4:5], vcc
	s_cbranch_execz .LBB4_1031
; %bb.1030:
	s_trap 2
	ds_read_b64 v[0:1], v0
	buffer_load_dword v2, off, s[0:3], s33 offset:208 ; 4-byte Folded Reload
	buffer_load_dword v3, off, s[0:3], s33 offset:212 ; 4-byte Folded Reload
	s_waitcnt vmcnt(0) lgkmcnt(0)
	flat_store_dwordx2 v[2:3], v[0:1] offset:16
.LBB4_1031:
	s_or_b64 exec, exec, s[4:5]
	s_waitcnt vmcnt(0)
	v_cmp_ne_u32_e32 vcc, 64, v16
	s_and_b64 exec, exec, vcc
	s_cbranch_execz .LBB4_1049
; %bb.1032:
	v_cmp_ne_u32_sdwa s[4:5], v16, v17 src0_sel:DWORD src1_sel:WORD_0
	s_and_saveexec_b64 s[10:11], s[4:5]
	s_xor_b64 s[4:5], exec, s[10:11]
	s_cbranch_execz .LBB4_1047
; %bb.1033:
	v_and_b32_e32 v0, 63, v31
	v_cmp_eq_u32_e32 vcc, 0, v0
	s_and_saveexec_b64 s[10:11], vcc
	s_cbranch_execz .LBB4_1046
; %bb.1034:
	s_mov_b64 s[14:15], exec
	v_mbcnt_lo_u32_b32 v0, s14, 0
	v_mbcnt_hi_u32_b32 v0, s15, v0
	v_cmp_eq_u32_e32 vcc, 0, v0
	s_waitcnt lgkmcnt(0)
	buffer_wbinvl1_vol
	s_and_saveexec_b64 s[12:13], vcc
	s_cbranch_execz .LBB4_1036
; %bb.1035:
	s_bcnt1_i32_b64 s14, s[14:15]
	v_mov_b32_e32 v0, s14
	v_mov_b32_e32 v1, 0
	ds_add_u64 v0, v[0:1]
	s_trap 2
.LBB4_1036:
	s_or_b64 exec, exec, s[12:13]
	v_lshrrev_b32_e32 v0, 6, v16
	s_trap 2
	ds_read_b64 v[2:3], v0
	s_waitcnt lgkmcnt(0)
	v_add_co_u32_e32 v0, vcc, v14, v0
	v_addc_co_u32_e32 v1, vcc, 0, v15, vcc
	v_cmp_lt_u64_e32 vcc, v[2:3], v[0:1]
	s_and_saveexec_b64 s[12:13], vcc
	s_cbranch_execz .LBB4_1045
; %bb.1037:
	s_mov_b32 s26, 0
	s_mov_b64 s[14:15], 0
                                        ; implicit-def: $sgpr16_sgpr17
                                        ; implicit-def: $sgpr18_sgpr19
	s_branch .LBB4_1039
.LBB4_1038:                             ;   in Loop: Header=BB4_1039 Depth=1
	s_or_b64 exec, exec, s[22:23]
	s_and_b64 s[20:21], exec, s[24:25]
	s_or_b64 s[14:15], s[20:21], s[14:15]
	s_andn2_b64 s[16:17], s[16:17], exec
	s_and_b64 s[20:21], s[18:19], exec
	s_or_b64 s[16:17], s[16:17], s[20:21]
	s_andn2_b64 exec, exec, s[14:15]
	s_cbranch_execz .LBB4_1043
.LBB4_1039:                             ; =>This Inner Loop Header: Depth=1
	s_add_i32 s26, s26, 1
	s_cmpk_lg_i32 s26, 0x2710
	s_cselect_b64 s[20:21], -1, 0
	s_and_b64 vcc, exec, s[20:21]
	s_cbranch_vccz .LBB4_1041
; %bb.1040:                             ;   in Loop: Header=BB4_1039 Depth=1
	s_mov_b64 s[24:25], -1
	s_or_b64 s[18:19], s[18:19], exec
	s_and_saveexec_b64 s[22:23], s[20:21]
	s_cbranch_execz .LBB4_1038
	s_branch .LBB4_1042
.LBB4_1041:                             ;   in Loop: Header=BB4_1039 Depth=1
	s_trap 2
	ds_read_b64 v[2:3], v0
	s_andn2_b64 s[20:21], s[20:21], exec
	s_mov_b32 s26, 0
	s_waitcnt lgkmcnt(0)
	flat_load_dword v2, v[2:3] glc
	s_waitcnt vmcnt(0) lgkmcnt(0)
	buffer_wbinvl1_vol
	v_cmp_eq_u32_e32 vcc, 0, v2
	s_and_b64 s[22:23], vcc, exec
	s_or_b64 s[20:21], s[20:21], s[22:23]
	s_mov_b64 s[24:25], -1
	s_or_b64 s[18:19], s[18:19], exec
	s_and_saveexec_b64 s[22:23], s[20:21]
	s_cbranch_execz .LBB4_1038
.LBB4_1042:                             ;   in Loop: Header=BB4_1039 Depth=1
	s_sleep 1
	s_trap 2
	ds_read_b64 v[2:3], v0
	s_waitcnt lgkmcnt(0)
	s_andn2_b64 s[18:19], s[18:19], exec
	v_cmp_ge_u64_e32 vcc, v[2:3], v[0:1]
	s_orn2_b64 s[24:25], vcc, exec
	s_branch .LBB4_1038
.LBB4_1043:
	s_or_b64 exec, exec, s[14:15]
	s_and_saveexec_b64 s[14:15], s[16:17]
	s_xor_b64 s[14:15], exec, s[14:15]
	s_cbranch_execz .LBB4_1045
; %bb.1044:
	v_mov_b32_e32 v0, 1
	ds_write_b32 v0, v0
	s_trap 2
.LBB4_1045:
	s_or_b64 exec, exec, s[12:13]
	;;#ASMSTART
	s_wakeup
	;;#ASMEND
.LBB4_1046:
	s_or_b64 exec, exec, s[10:11]
.LBB4_1047:
	s_andn2_saveexec_b64 s[4:5], s[4:5]
	s_cbranch_execz .LBB4_1049
; %bb.1048:
	s_waitcnt lgkmcnt(0)
	buffer_wbinvl1_vol
	s_barrier
.LBB4_1049:
	s_or_b64 exec, exec, s[6:7]
.LBB4_1050:
	s_andn2_saveexec_b64 s[26:27], s[46:47]
	s_cbranch_execz .LBB4_1052
; %bb.1051:
	s_getpc_b64 s[4:5]
	s_add_u32 s4, s4, __PRETTY_FUNCTION__._ZN10PrimitivesIa7FuncSumIaE12FanSymmetricILi1EELi0E11ProtoSimpleILi2ELi2ELi0ELi1ELi0ELi0EELi0ELb0ELi0ELi0ELi0EEC2EiiPKiS8_PKvPvmhhhP15ncclDevWorkCollP14ncclDevWorkP2pii@rel32@lo+4
	s_addc_u32 s5, s5, __PRETTY_FUNCTION__._ZN10PrimitivesIa7FuncSumIaE12FanSymmetricILi1EELi0E11ProtoSimpleILi2ELi2ELi0ELi1ELi0ELi0EELi0ELb0ELi0ELi0ELi0EEC2EiiPKiS8_PKvPvmhhhP15ncclDevWorkCollP14ncclDevWorkP2pii@rel32@hi+12
	s_getpc_b64 s[6:7]
	s_add_u32 s6, s6, __assert_fail@rel32@lo+4
	s_addc_u32 s7, s7, __assert_fail@rel32@hi+12
	v_mov_b32_e32 v0, s4
	v_mov_b32_e32 v1, s5
	s_swappc_b64 s[30:31], s[6:7]
	; divergent unreachable
.LBB4_1052:
	s_or_b64 exec, exec, s[26:27]
.LBB4_1053:
	s_or_b64 exec, exec, s[44:45]
	buffer_load_dword v62, off, s[0:3], s33 ; 4-byte Folded Reload
	buffer_load_dword v61, off, s[0:3], s33 offset:4 ; 4-byte Folded Reload
	s_waitcnt lgkmcnt(0)
	buffer_load_dword v60, off, s[0:3], s33 offset:8 ; 4-byte Folded Reload
	buffer_load_dword v59, off, s[0:3], s33 offset:12 ; 4-byte Folded Reload
	;; [unrolled: 1-line block ×13, first 2 shown]
	v_readlane_b32 s30, v63, 17
	v_readlane_b32 s31, v63, 18
	;; [unrolled: 1-line block ×19, first 2 shown]
	s_mov_b32 s32, s33
	v_readlane_b32 s4, v63, 19
	s_or_saveexec_b64 s[6:7], -1
	buffer_load_dword v63, off, s[0:3], s33 offset:216 ; 4-byte Folded Reload
	s_mov_b64 exec, s[6:7]
	s_mov_b32 s33, s4
	s_waitcnt vmcnt(0)
	s_setpc_b64 s[30:31]
.Lfunc_end4:
	.size	_ZN12_GLOBAL__N_17runRingIa7FuncSumIaE11ProtoSimpleILi2ELi2ELi0ELi1ELi0ELi0EELi0ELi1ELi0ELb0EEEviiP15ncclDevWorkColl, .Lfunc_end4-_ZN12_GLOBAL__N_17runRingIa7FuncSumIaE11ProtoSimpleILi2ELi2ELi0ELi1ELi0ELi0EELi0ELi1ELi0ELb0EEEviiP15ncclDevWorkColl
                                        ; -- End function
	.set .L_ZN12_GLOBAL__N_17runRingIa7FuncSumIaE11ProtoSimpleILi2ELi2ELi0ELi1ELi0ELi0EELi0ELi1ELi0ELb0EEEviiP15ncclDevWorkColl.num_vgpr, max(64, .L__assert_fail.num_vgpr)
	.set .L_ZN12_GLOBAL__N_17runRingIa7FuncSumIaE11ProtoSimpleILi2ELi2ELi0ELi1ELi0ELi0EELi0ELi1ELi0ELb0EEEviiP15ncclDevWorkColl.num_agpr, max(0, .L__assert_fail.num_agpr)
	.set .L_ZN12_GLOBAL__N_17runRingIa7FuncSumIaE11ProtoSimpleILi2ELi2ELi0ELi1ELi0ELi0EELi0ELi1ELi0ELb0EEEviiP15ncclDevWorkColl.numbered_sgpr, max(96, .L__assert_fail.numbered_sgpr)
	.set .L_ZN12_GLOBAL__N_17runRingIa7FuncSumIaE11ProtoSimpleILi2ELi2ELi0ELi1ELi0ELi0EELi0ELi1ELi0ELb0EEEviiP15ncclDevWorkColl.num_named_barrier, max(0, .L__assert_fail.num_named_barrier)
	.set .L_ZN12_GLOBAL__N_17runRingIa7FuncSumIaE11ProtoSimpleILi2ELi2ELi0ELi1ELi0ELi0EELi0ELi1ELi0ELb0EEEviiP15ncclDevWorkColl.private_seg_size, 224+max(.L__assert_fail.private_seg_size)
	.set .L_ZN12_GLOBAL__N_17runRingIa7FuncSumIaE11ProtoSimpleILi2ELi2ELi0ELi1ELi0ELi0EELi0ELi1ELi0ELb0EEEviiP15ncclDevWorkColl.uses_vcc, or(1, .L__assert_fail.uses_vcc)
	.set .L_ZN12_GLOBAL__N_17runRingIa7FuncSumIaE11ProtoSimpleILi2ELi2ELi0ELi1ELi0ELi0EELi0ELi1ELi0ELb0EEEviiP15ncclDevWorkColl.uses_flat_scratch, or(0, .L__assert_fail.uses_flat_scratch)
	.set .L_ZN12_GLOBAL__N_17runRingIa7FuncSumIaE11ProtoSimpleILi2ELi2ELi0ELi1ELi0ELi0EELi0ELi1ELi0ELb0EEEviiP15ncclDevWorkColl.has_dyn_sized_stack, or(0, .L__assert_fail.has_dyn_sized_stack)
	.set .L_ZN12_GLOBAL__N_17runRingIa7FuncSumIaE11ProtoSimpleILi2ELi2ELi0ELi1ELi0ELi0EELi0ELi1ELi0ELb0EEEviiP15ncclDevWorkColl.has_recursion, or(1, .L__assert_fail.has_recursion)
	.set .L_ZN12_GLOBAL__N_17runRingIa7FuncSumIaE11ProtoSimpleILi2ELi2ELi0ELi1ELi0ELi0EELi0ELi1ELi0ELb0EEEviiP15ncclDevWorkColl.has_indirect_call, or(0, .L__assert_fail.has_indirect_call)
	.section	.AMDGPU.csdata,"",@progbits
; Function info:
; codeLenInByte = 31076
; TotalNumSgprs: 100
; NumVgprs: 64
; ScratchSize: 288
; MemoryBound: 0
	.text
	.p2align	2                               ; -- Begin function _Z46ncclDevFunc_AllGather_RING_SIMPLE_Sum_i8_0_0_1v
	.type	_Z46ncclDevFunc_AllGather_RING_SIMPLE_Sum_i8_0_0_1v,@function
_Z46ncclDevFunc_AllGather_RING_SIMPLE_Sum_i8_0_0_1v: ; @_Z46ncclDevFunc_AllGather_RING_SIMPLE_Sum_i8_0_0_1v
; %bb.0:
	s_waitcnt vmcnt(0) expcnt(0) lgkmcnt(0)
	s_mov_b32 s4, s33
	s_mov_b32 s33, s32
	s_or_saveexec_b64 s[6:7], -1
	buffer_store_dword v43, off, s[0:3], s33 offset:16 ; 4-byte Folded Spill
	s_mov_b64 exec, s[6:7]
	v_writelane_b32 v43, s4, 25
	s_addk_i32 s32, 0x800
	buffer_store_dword v40, off, s[0:3], s33 offset:12 ; 4-byte Folded Spill
	buffer_store_dword v41, off, s[0:3], s33 offset:8 ; 4-byte Folded Spill
	;; [unrolled: 1-line block ×3, first 2 shown]
	buffer_store_dword v63, off, s[0:3], s33 ; 4-byte Folded Spill
	v_writelane_b32 v43, s34, 0
	v_writelane_b32 v43, s35, 1
	;; [unrolled: 1-line block ×25, first 2 shown]
	s_trap 2
	ds_read_b32 v0, v0
	v_mov_b32_e32 v40, v31
	s_mov_b32 s67, s12
	s_mov_b64 s[68:69], s[8:9]
	s_waitcnt lgkmcnt(0)
	v_cmp_gt_i32_e32 vcc, 1, v0
	s_cbranch_vccnz .LBB5_8
; %bb.1:
	s_mov_b32 s80, 0
	v_and_b32_e32 v41, 0x3ff, v40
	v_mov_b32_e32 v42, 6
	s_branch .LBB5_3
.LBB5_2:                                ;   in Loop: Header=BB5_3 Depth=1
	s_or_b64 exec, exec, s[70:71]
	s_trap 2
	ds_read_b32 v0, v0
	s_add_i32 s80, s80, 1
	s_waitcnt lgkmcnt(0)
	v_cmp_lt_i32_e32 vcc, s80, v0
	s_cbranch_vccz .LBB5_8
.LBB5_3:                                ; =>This Inner Loop Header: Depth=1
	s_trap 2
	ds_read_b32 v0, v0
	s_cmp_eq_u32 s80, 0
	s_cbranch_scc1 .LBB5_6
; %bb.4:                                ;   in Loop: Header=BB5_3 Depth=1
	s_trap 2
	s_waitcnt lgkmcnt(0)
	ds_read_b32 v1, v0
	s_waitcnt lgkmcnt(0)
	v_xor_b32_e32 v1, v1, v0
	v_and_b32_e32 v1, 0xff0000, v1
	v_cmp_eq_u32_e32 vcc, 0, v1
	s_cbranch_vccnz .LBB5_6
; %bb.5:                                ;   in Loop: Header=BB5_3 Depth=1
	s_waitcnt vmcnt(0)
	s_barrier
	ds_read_b32 v0, v0
.LBB5_6:                                ;   in Loop: Header=BB5_3 Depth=1
	s_waitcnt lgkmcnt(0)
	v_lshlrev_b32_sdwa v1, v42, v0 dst_sel:DWORD dst_unused:UNUSED_PAD src0_sel:DWORD src1_sel:BYTE_2
	v_cmp_lt_u32_e32 vcc, v41, v1
	s_and_saveexec_b64 s[70:71], vcc
	s_cbranch_execz .LBB5_2
; %bb.7:                                ;   in Loop: Header=BB5_3 Depth=1
	s_mov_b64 s[4:5], src_shared_base
	s_getpc_b64 s[6:7]
	s_add_u32 s6, s6, _ZN12_GLOBAL__N_17runRingIa7FuncSumIaE11ProtoSimpleILi2ELi2ELi0ELi1ELi0ELi0EELi0ELi1ELi0ELb0EEEviiP15ncclDevWorkColl@rel32@lo+4
	s_addc_u32 s7, s7, _ZN12_GLOBAL__N_17runRingIa7FuncSumIaE11ProtoSimpleILi2ELi2ELi0ELi1ELi0ELi0EELi0ELi1ELi0ELb0EEEviiP15ncclDevWorkColl@rel32@hi+12
	s_mov_b64 s[8:9], s[68:69]
	s_mov_b32 s12, s67
	v_mov_b32_e32 v31, v40
	v_mov_b32_e32 v0, v41
	;; [unrolled: 1-line block ×3, first 2 shown]
	s_swappc_b64 s[30:31], s[6:7]
	s_branch .LBB5_2
.LBB5_8:
	buffer_load_dword v63, off, s[0:3], s33 ; 4-byte Folded Reload
	buffer_load_dword v42, off, s[0:3], s33 offset:4 ; 4-byte Folded Reload
	buffer_load_dword v41, off, s[0:3], s33 offset:8 ; 4-byte Folded Reload
	;; [unrolled: 1-line block ×3, first 2 shown]
	v_readlane_b32 s30, v43, 23
	v_readlane_b32 s31, v43, 24
	;; [unrolled: 1-line block ×25, first 2 shown]
	s_mov_b32 s32, s33
	v_readlane_b32 s4, v43, 25
	s_or_saveexec_b64 s[6:7], -1
	buffer_load_dword v43, off, s[0:3], s33 offset:16 ; 4-byte Folded Reload
	s_mov_b64 exec, s[6:7]
	s_mov_b32 s33, s4
	s_waitcnt vmcnt(0)
	s_setpc_b64 s[30:31]
.Lfunc_end5:
	.size	_Z46ncclDevFunc_AllGather_RING_SIMPLE_Sum_i8_0_0_1v, .Lfunc_end5-_Z46ncclDevFunc_AllGather_RING_SIMPLE_Sum_i8_0_0_1v
                                        ; -- End function
	.set .L_Z46ncclDevFunc_AllGather_RING_SIMPLE_Sum_i8_0_0_1v.num_vgpr, max(64, .L_ZN12_GLOBAL__N_17runRingIa7FuncSumIaE11ProtoSimpleILi2ELi2ELi0ELi1ELi0ELi0EELi0ELi1ELi0ELb0EEEviiP15ncclDevWorkColl.num_vgpr)
	.set .L_Z46ncclDevFunc_AllGather_RING_SIMPLE_Sum_i8_0_0_1v.num_agpr, max(0, .L_ZN12_GLOBAL__N_17runRingIa7FuncSumIaE11ProtoSimpleILi2ELi2ELi0ELi1ELi0ELi0EELi0ELi1ELi0ELb0EEEviiP15ncclDevWorkColl.num_agpr)
	.set .L_Z46ncclDevFunc_AllGather_RING_SIMPLE_Sum_i8_0_0_1v.numbered_sgpr, max(81, .L_ZN12_GLOBAL__N_17runRingIa7FuncSumIaE11ProtoSimpleILi2ELi2ELi0ELi1ELi0ELi0EELi0ELi1ELi0ELb0EEEviiP15ncclDevWorkColl.numbered_sgpr)
	.set .L_Z46ncclDevFunc_AllGather_RING_SIMPLE_Sum_i8_0_0_1v.num_named_barrier, max(0, .L_ZN12_GLOBAL__N_17runRingIa7FuncSumIaE11ProtoSimpleILi2ELi2ELi0ELi1ELi0ELi0EELi0ELi1ELi0ELb0EEEviiP15ncclDevWorkColl.num_named_barrier)
	.set .L_Z46ncclDevFunc_AllGather_RING_SIMPLE_Sum_i8_0_0_1v.private_seg_size, 32+max(.L_ZN12_GLOBAL__N_17runRingIa7FuncSumIaE11ProtoSimpleILi2ELi2ELi0ELi1ELi0ELi0EELi0ELi1ELi0ELb0EEEviiP15ncclDevWorkColl.private_seg_size)
	.set .L_Z46ncclDevFunc_AllGather_RING_SIMPLE_Sum_i8_0_0_1v.uses_vcc, or(1, .L_ZN12_GLOBAL__N_17runRingIa7FuncSumIaE11ProtoSimpleILi2ELi2ELi0ELi1ELi0ELi0EELi0ELi1ELi0ELb0EEEviiP15ncclDevWorkColl.uses_vcc)
	.set .L_Z46ncclDevFunc_AllGather_RING_SIMPLE_Sum_i8_0_0_1v.uses_flat_scratch, or(0, .L_ZN12_GLOBAL__N_17runRingIa7FuncSumIaE11ProtoSimpleILi2ELi2ELi0ELi1ELi0ELi0EELi0ELi1ELi0ELb0EEEviiP15ncclDevWorkColl.uses_flat_scratch)
	.set .L_Z46ncclDevFunc_AllGather_RING_SIMPLE_Sum_i8_0_0_1v.has_dyn_sized_stack, or(0, .L_ZN12_GLOBAL__N_17runRingIa7FuncSumIaE11ProtoSimpleILi2ELi2ELi0ELi1ELi0ELi0EELi0ELi1ELi0ELb0EEEviiP15ncclDevWorkColl.has_dyn_sized_stack)
	.set .L_Z46ncclDevFunc_AllGather_RING_SIMPLE_Sum_i8_0_0_1v.has_recursion, or(1, .L_ZN12_GLOBAL__N_17runRingIa7FuncSumIaE11ProtoSimpleILi2ELi2ELi0ELi1ELi0ELi0EELi0ELi1ELi0ELb0EEEviiP15ncclDevWorkColl.has_recursion)
	.set .L_Z46ncclDevFunc_AllGather_RING_SIMPLE_Sum_i8_0_0_1v.has_indirect_call, or(0, .L_ZN12_GLOBAL__N_17runRingIa7FuncSumIaE11ProtoSimpleILi2ELi2ELi0ELi1ELi0ELi0EELi0ELi1ELi0ELb0EEEviiP15ncclDevWorkColl.has_indirect_call)
	.section	.AMDGPU.csdata,"",@progbits
; Function info:
; codeLenInByte = 784
; TotalNumSgprs: 100
; NumVgprs: 64
; ScratchSize: 320
; MemoryBound: 0
	.text
	.p2align	2                               ; -- Begin function _Z41ncclDevFunc_AllGather_PAT_LL_Sum_i8_0_0_1v
	.type	_Z41ncclDevFunc_AllGather_PAT_LL_Sum_i8_0_0_1v,@function
_Z41ncclDevFunc_AllGather_PAT_LL_Sum_i8_0_0_1v: ; @_Z41ncclDevFunc_AllGather_PAT_LL_Sum_i8_0_0_1v
; %bb.0:
	s_waitcnt vmcnt(0) expcnt(0) lgkmcnt(0)
	s_trap 2
	ds_read_b32 v0, v0
	s_waitcnt lgkmcnt(0)
	v_cmp_gt_i32_e32 vcc, 1, v0
	s_cbranch_vccnz .LBB6_6
; %bb.1:
	s_mov_b32 s4, 0
	s_branch .LBB6_3
.LBB6_2:                                ;   in Loop: Header=BB6_3 Depth=1
	s_add_i32 s4, s4, 1
	s_waitcnt lgkmcnt(0)
	v_cmp_lt_i32_e32 vcc, s4, v0
	s_cbranch_vccz .LBB6_6
.LBB6_3:                                ; =>This Inner Loop Header: Depth=1
	s_cmp_eq_u32 s4, 0
	s_cbranch_scc1 .LBB6_2
; %bb.4:                                ;   in Loop: Header=BB6_3 Depth=1
	s_trap 2
	ds_read_b32 v1, v0
	s_waitcnt lgkmcnt(0)
	v_xor_b32_e32 v1, v1, v1
	v_and_b32_e32 v1, 0xff0000, v1
	v_cmp_eq_u32_e32 vcc, 0, v1
	s_cbranch_vccnz .LBB6_2
; %bb.5:                                ;   in Loop: Header=BB6_3 Depth=1
	s_barrier
	s_trap 2
	ds_read_b32 v0, v0
	s_branch .LBB6_2
.LBB6_6:
	s_setpc_b64 s[30:31]
.Lfunc_end6:
	.size	_Z41ncclDevFunc_AllGather_PAT_LL_Sum_i8_0_0_1v, .Lfunc_end6-_Z41ncclDevFunc_AllGather_PAT_LL_Sum_i8_0_0_1v
                                        ; -- End function
	.set .L_Z41ncclDevFunc_AllGather_PAT_LL_Sum_i8_0_0_1v.num_vgpr, 2
	.set .L_Z41ncclDevFunc_AllGather_PAT_LL_Sum_i8_0_0_1v.num_agpr, 0
	.set .L_Z41ncclDevFunc_AllGather_PAT_LL_Sum_i8_0_0_1v.numbered_sgpr, 32
	.set .L_Z41ncclDevFunc_AllGather_PAT_LL_Sum_i8_0_0_1v.num_named_barrier, 0
	.set .L_Z41ncclDevFunc_AllGather_PAT_LL_Sum_i8_0_0_1v.private_seg_size, 0
	.set .L_Z41ncclDevFunc_AllGather_PAT_LL_Sum_i8_0_0_1v.uses_vcc, 1
	.set .L_Z41ncclDevFunc_AllGather_PAT_LL_Sum_i8_0_0_1v.uses_flat_scratch, 0
	.set .L_Z41ncclDevFunc_AllGather_PAT_LL_Sum_i8_0_0_1v.has_dyn_sized_stack, 0
	.set .L_Z41ncclDevFunc_AllGather_PAT_LL_Sum_i8_0_0_1v.has_recursion, 0
	.set .L_Z41ncclDevFunc_AllGather_PAT_LL_Sum_i8_0_0_1v.has_indirect_call, 0
	.section	.AMDGPU.csdata,"",@progbits
; Function info:
; codeLenInByte = 120
; TotalNumSgprs: 36
; NumVgprs: 2
; ScratchSize: 0
; MemoryBound: 0
	.text
	.p2align	2                               ; -- Begin function _Z45ncclDevFunc_AllGather_PAT_SIMPLE_Sum_i8_0_0_1v
	.type	_Z45ncclDevFunc_AllGather_PAT_SIMPLE_Sum_i8_0_0_1v,@function
_Z45ncclDevFunc_AllGather_PAT_SIMPLE_Sum_i8_0_0_1v: ; @_Z45ncclDevFunc_AllGather_PAT_SIMPLE_Sum_i8_0_0_1v
; %bb.0:
	s_waitcnt vmcnt(0) expcnt(0) lgkmcnt(0)
	s_or_saveexec_b64 s[4:5], -1
	buffer_store_dword v63, off, s[0:3], s32 offset:408 ; 4-byte Folded Spill
	s_mov_b64 exec, s[4:5]
	buffer_store_dword v40, off, s[0:3], s32 offset:56 ; 4-byte Folded Spill
	buffer_store_dword v41, off, s[0:3], s32 offset:52 ; 4-byte Folded Spill
	;; [unrolled: 1-line block ×14, first 2 shown]
	buffer_store_dword v62, off, s[0:3], s32 ; 4-byte Folded Spill
	v_writelane_b32 v63, s34, 0
	v_writelane_b32 v63, s35, 1
	;; [unrolled: 1-line block ×16, first 2 shown]
	s_trap 2
	ds_read_b32 v0, v0
	s_waitcnt lgkmcnt(0)
	v_cmp_gt_i32_e32 vcc, 1, v0
	s_cbranch_vccnz .LBB7_381
; %bb.1:
	s_load_dword s4, s[8:9], 0x0
	v_mov_b32_e32 v10, 0
	v_and_b32_e32 v30, 0x3ff, v31
	s_mov_b32 s40, 0
	v_and_b32_e32 v0, 63, v31
	s_waitcnt lgkmcnt(0)
	s_cmp_lt_u32 s12, s4
	s_cselect_b32 s4, 12, 18
	s_add_u32 s4, s8, s4
	s_addc_u32 s5, s9, 0
	global_load_ushort v29, v10, s[4:5]
	s_movk_i32 s12, 0x80
	s_lshr_b32 s16, s32, 6
	s_brev_b32 s41, 1
	v_cmp_gt_u32_e64 s[4:5], 32, v30
	v_cmp_eq_u32_e64 s[6:7], 0, v30
	v_cmp_eq_u32_e64 s[8:9], s12, v30
	v_cmp_ne_u32_e64 s[10:11], s12, v30
	v_cmp_gt_u32_e64 s[12:13], s12, v30
	v_cmp_eq_u32_e64 s[14:15], 0, v0
	s_add_i32 s34, s16, 0x98
	s_movk_i32 s35, 0xe00
	s_addk_i32 s36, 0x700
	v_mov_b32_e32 v32, 1
	s_mov_b32 s37, 0x43000000
	s_movk_i32 s38, 0xffc0
	s_movk_i32 s39, 0xfe40
	;; [unrolled: 1-line block ×5, first 2 shown]
	v_mov_b32_e32 v62, 2
	v_mov_b32_e32 v31, -1
	s_movk_i32 s51, 0x1f8
	s_mov_b32 s52, s40
	s_trap 2
	s_branch .LBB7_4
.LBB7_2:                                ;   in Loop: Header=BB7_4 Depth=1
	s_or_b64 exec, exec, s[24:25]
.LBB7_3:                                ;   in Loop: Header=BB7_4 Depth=1
	s_or_b64 exec, exec, s[42:43]
	s_trap 2
	ds_read_b32 v0, v0
	s_add_i32 s52, s52, 1
	s_waitcnt lgkmcnt(0)
	v_cmp_lt_i32_e32 vcc, s52, v0
	s_cbranch_vccz .LBB7_381
.LBB7_4:                                ; =>This Loop Header: Depth=1
                                        ;     Child Loop BB7_18 Depth 2
                                        ;     Child Loop BB7_26 Depth 2
	;; [unrolled: 1-line block ×4, first 2 shown]
                                        ;       Child Loop BB7_54 Depth 3
                                        ;       Child Loop BB7_86 Depth 3
	;; [unrolled: 1-line block ×12, first 2 shown]
                                        ;     Child Loop BB7_236 Depth 2
                                        ;     Child Loop BB7_248 Depth 2
	;; [unrolled: 1-line block ×6, first 2 shown]
                                        ;       Child Loop BB7_289 Depth 3
                                        ;       Child Loop BB7_346 Depth 3
	;; [unrolled: 1-line block ×4, first 2 shown]
	s_trap 2
	ds_read_b32 v8, v0
	s_cmp_eq_u32 s52, 0
	s_cbranch_scc1 .LBB7_7
; %bb.5:                                ;   in Loop: Header=BB7_4 Depth=1
	s_trap 2
	ds_read_b32 v0, v0
	s_waitcnt lgkmcnt(0)
	v_xor_b32_e32 v0, v0, v8
	v_and_b32_e32 v0, 0xff0000, v0
	v_cmp_eq_u32_e32 vcc, 0, v0
	s_cbranch_vccnz .LBB7_7
; %bb.6:                                ;   in Loop: Header=BB7_4 Depth=1
	s_waitcnt vmcnt(0)
	s_barrier
	s_trap 2
	ds_read_b32 v8, v0
.LBB7_7:                                ;   in Loop: Header=BB7_4 Depth=1
	s_waitcnt lgkmcnt(0)
	v_bfe_u32 v14, v8, 16, 8
	v_lshlrev_b32_e32 v11, 6, v14
	v_cmp_lt_u32_e32 vcc, v30, v11
	s_and_saveexec_b64 s[42:43], vcc
	s_cbranch_execz .LBB7_3
; %bb.8:                                ;   in Loop: Header=BB7_4 Depth=1
	s_trap 2
	ds_read2_b64 v[0:3], v0 offset1:1
	v_not_b32_sdwa v12, v8 dst_sel:DWORD dst_unused:UNUSED_PAD src0_sel:BYTE_0
	v_add_u32_sdwa v6, v8, v12 dst_sel:DWORD dst_unused:UNUSED_PAD src0_sel:BYTE_1 src1_sel:DWORD
	v_ashrrev_i32_e32 v7, 31, v6
	s_waitcnt lgkmcnt(0)
	ds_read_b64 v[4:5], v0
	ds_read_b32 v9, v0
	v_mul_lo_u32 v7, v2, v7
	v_mul_hi_u32 v13, v2, v6
	v_mul_lo_u32 v15, v3, v6
	v_mul_lo_u32 v6, v2, v6
	s_waitcnt lgkmcnt(0)
	v_cmp_ne_u32_sdwa s[16:17], v9, v8 src0_sel:DWORD src1_sel:BYTE_0
	v_add_u32_e32 v7, v13, v7
	v_add_u32_e32 v7, v7, v15
	s_and_b64 vcc, exec, s[16:17]
	v_add_co_u32_e64 v6, s[16:17], v6, v0
	v_readfirstlane_b32 s54, v4
	v_readfirstlane_b32 s53, v5
	v_addc_co_u32_e64 v7, s[16:17], v7, v1, s[16:17]
	s_cbranch_vccz .LBB7_11
; %bb.9:                                ;   in Loop: Header=BB7_4 Depth=1
	v_cmp_ne_u32_sdwa s[16:17], v9, v8 src0_sel:DWORD src1_sel:BYTE_1
	s_and_b64 vcc, exec, s[16:17]
	s_cbranch_vccz .LBB7_12
; %bb.10:                               ;   in Loop: Header=BB7_4 Depth=1
	v_add_u32_e32 v8, v9, v12
	v_ashrrev_i32_e32 v9, 31, v8
	v_mul_lo_u32 v9, v2, v9
	v_mul_hi_u32 v12, v2, v8
	v_mul_lo_u32 v13, v3, v8
	v_mul_lo_u32 v8, v2, v8
	s_trap 2
	v_add_u32_e32 v9, v12, v9
	v_add_u32_e32 v9, v9, v13
	ds_read_b64 v[12:13], v0
	v_add_co_u32_e32 v8, vcc, v8, v0
	v_addc_co_u32_e32 v9, vcc, v9, v1, vcc
	s_waitcnt lgkmcnt(0)
	v_lshrrev_b64 v[12:13], 12, v[12:13]
	s_cbranch_execz .LBB7_13
	s_branch .LBB7_14
.LBB7_11:                               ;   in Loop: Header=BB7_4 Depth=1
                                        ; implicit-def: $vgpr12_vgpr13
                                        ; implicit-def: $vgpr8_vgpr9
	s_branch .LBB7_15
.LBB7_12:                               ;   in Loop: Header=BB7_4 Depth=1
                                        ; implicit-def: $vgpr12_vgpr13
                                        ; implicit-def: $vgpr8_vgpr9
.LBB7_13:                               ;   in Loop: Header=BB7_4 Depth=1
	s_trap 2
	ds_read_b32 v2, v0
	v_mov_b32_e32 v9, v7
	v_mov_b32_e32 v8, v6
	s_waitcnt lgkmcnt(0)
	v_lshrrev_b32_e32 v12, 1, v2
	v_mov_b32_e32 v2, v4
	v_mov_b32_e32 v3, v5
.LBB7_14:                               ;   in Loop: Header=BB7_4 Depth=1
	s_cbranch_execnz .LBB7_16
.LBB7_15:                               ;   in Loop: Header=BB7_4 Depth=1
	s_trap 2
	ds_read_b64 v[2:3], v0
	v_mov_b32_e32 v8, 0
	v_mov_b32_e32 v9, 0
	s_waitcnt lgkmcnt(0)
	v_lshlrev_b64 v[12:13], 9, v[2:3]
	v_mov_b32_e32 v3, v1
	v_mov_b32_e32 v2, v0
.LBB7_16:                               ;   in Loop: Header=BB7_4 Depth=1
	s_waitcnt vmcnt(0)
	s_barrier
	s_and_saveexec_b64 s[16:17], s[4:5]
	s_cbranch_execz .LBB7_19
; %bb.17:                               ;   in Loop: Header=BB7_4 Depth=1
	v_mul_lo_u32 v0, v14, s35
	s_mov_b64 s[18:19], 0
	v_mov_b32_e32 v13, v30
                                        ; implicit-def: $vgpr1
.LBB7_18:                               ;   Parent Loop BB7_4 Depth=1
                                        ; =>  This Inner Loop Header: Depth=2
	v_add_u32_e32 v13, v13, v11
	v_cmp_lt_u32_e32 vcc, 31, v13
	ds_write_b32 v1, v10
	s_or_b64 s[18:19], vcc, s[18:19]
	v_add_u32_e32 v1, v1, v0
	s_andn2_b64 exec, exec, s[18:19]
	s_cbranch_execnz .LBB7_18
.LBB7_19:                               ;   in Loop: Header=BB7_4 Depth=1
	s_or_b64 exec, exec, s[16:17]
	s_and_saveexec_b64 s[16:17], s[6:7]
	s_cbranch_execz .LBB7_21
; %bb.20:                               ;   in Loop: Header=BB7_4 Depth=1
	v_mov_b32_e32 v11, v10
	ds_write_b64 v0, v[10:11]
	s_trap 2
.LBB7_21:                               ;   in Loop: Header=BB7_4 Depth=1
	s_or_b64 exec, exec, s[16:17]
	s_and_saveexec_b64 s[16:17], s[8:9]
	s_cbranch_execz .LBB7_23
; %bb.22:                               ;   in Loop: Header=BB7_4 Depth=1
	ds_write_b32 v0, v10
	s_trap 2
.LBB7_23:                               ;   in Loop: Header=BB7_4 Depth=1
	s_or_b64 exec, exec, s[16:17]
	s_waitcnt lgkmcnt(0)
	s_barrier
	s_and_saveexec_b64 s[16:17], s[10:11]
	s_xor_b64 s[44:45], exec, s[16:17]
	s_cbranch_execz .LBB7_259
; %bb.24:                               ;   in Loop: Header=BB7_4 Depth=1
	s_and_saveexec_b64 s[46:47], s[12:13]
	s_cbranch_execz .LBB7_258
; %bb.25:                               ;   in Loop: Header=BB7_4 Depth=1
	s_trap 2
	ds_read_b128 v[0:3], v0
	s_mov_b64 s[16:17], 0
.LBB7_26:                               ;   Parent Loop BB7_4 Depth=1
                                        ; =>  This Inner Loop Header: Depth=2
	s_mov_b64 s[18:19], src_shared_base
	s_cmp_lg_u32 s36, -1
	s_cselect_b32 s18, s36, 0
	s_cselect_b32 s19, s19, 0
	v_mov_b32_e32 v4, s18
	v_mov_b32_e32 v5, s19
	flat_load_dword v4, v[4:5] glc
	s_waitcnt vmcnt(0)
	s_trap 2
	s_waitcnt lgkmcnt(0)
	v_cmp_ne_u32_e32 vcc, 0, v4
	s_or_b64 s[16:17], vcc, s[16:17]
	s_andn2_b64 exec, exec, s[16:17]
	s_cbranch_execnz .LBB7_26
; %bb.27:                               ;   in Loop: Header=BB7_4 Depth=1
	s_or_b64 exec, exec, s[16:17]
	v_lshlrev_b32_e32 v4, 6, v4
	v_sub_u32_e32 v5, 0, v4
	v_max_i32_e32 v5, v4, v5
	v_cvt_f32_u32_e32 v6, v5
	v_sub_u32_e32 v7, 0, v5
	v_ashrrev_i32_e32 v4, 31, v4
	s_trap 2
	v_rcp_iflag_f32_e32 v6, v6
	v_mov_b32_e32 v35, 0x800
	v_mul_f32_e32 v6, 0x4f7ffffe, v6
	v_cvt_u32_f32_e32 v6, v6
	v_mul_lo_u32 v7, v7, v6
	v_mul_hi_u32 v7, v6, v7
	v_add_u32_e32 v6, v6, v7
	v_lshrrev_b32_e32 v6, 25, v6
	v_mul_lo_u32 v7, v6, v5
	v_add_u32_e32 v8, 1, v6
	v_sub_u32_e32 v7, 0x80, v7
	v_cmp_ge_u32_e32 vcc, v7, v5
	v_cndmask_b32_e32 v6, v6, v8, vcc
	v_sub_u32_e32 v8, v7, v5
	v_cndmask_b32_e32 v7, v7, v8, vcc
	v_add_u32_e32 v8, 1, v6
	v_cmp_ge_u32_e32 vcc, v7, v5
	v_cndmask_b32_e32 v5, v6, v8, vcc
	v_xor_b32_e32 v5, v5, v4
	v_sub_u32_e32 v12, v5, v4
	v_lshlrev_b32_e32 v36, 6, v12
	v_cvt_f32_i32_e32 v9, v36
	v_cvt_f32_i32_e32 v7, v30
	v_bfe_i32 v4, v12, 24, 2
	v_or_b32_e32 v4, 1, v4
	v_rcp_iflag_f32_e32 v17, v9
	v_mul_f32_e32 v5, v7, v17
	v_trunc_f32_e32 v5, v5
	v_cvt_i32_f32_e32 v6, v5
	v_mad_f32 v5, -v5, v9, v7
	v_cmp_ge_f32_e64 vcc, |v5|, |v9|
	v_cndmask_b32_e32 v4, 0, v4, vcc
	v_add_u32_e32 v4, v6, v4
	v_bfe_i32 v37, v4, 0, 16
	v_mul_lo_u32 v8, v36, v37
	ds_read_b64 v[4:5], v0
	v_sub_u32_e32 v13, v30, v8
	v_cmp_gt_i32_e32 vcc, 5, v13
	v_ashrrev_i32_e32 v14, 31, v13
	s_and_saveexec_b64 s[16:17], vcc
	s_cbranch_execz .LBB7_29
; %bb.28:                               ;   in Loop: Header=BB7_4 Depth=1
	v_lshlrev_b64 v[6:7], 2, v[13:14]
	s_getpc_b64 s[18:19]
	s_add_u32 s18, s18, __const.Primitives.roles@rel32@lo+4
	s_addc_u32 s19, s19, __const.Primitives.roles@rel32@hi+12
	v_mov_b32_e32 v11, s19
	v_add_co_u32_e32 v6, vcc, s18, v6
	v_addc_co_u32_e32 v7, vcc, v11, v7, vcc
	global_load_dword v6, v[6:7], off
	s_waitcnt vmcnt(0)
	v_or_b32_e32 v35, 0x800, v6
.LBB7_29:                               ;   in Loop: Header=BB7_4 Depth=1
	s_or_b64 exec, exec, s[16:17]
	ds_read_b32 v6, v0
	v_lshlrev_b64 v[15:16], v13, 1
	v_cmp_gt_i32_e64 s[16:17], 32, v13
	s_trap 2
	s_waitcnt lgkmcnt(0)
	v_ashrrev_i32_e32 v7, 31, v6
	v_cmp_lt_u64_e32 vcc, v[15:16], v[6:7]
	s_and_b64 s[18:19], s[16:17], vcc
	s_and_saveexec_b64 s[16:17], s[18:19]
	s_cbranch_execz .LBB7_31
; %bb.30:                               ;   in Loop: Header=BB7_4 Depth=1
	v_cvt_f32_u32_e32 v7, v6
	v_sub_u32_e32 v11, 0, v6
	ds_read_b32 v26, v0
	v_lshlrev_b32_e64 v27, v13, 1
	v_rcp_iflag_f32_e32 v7, v7
	s_trap 2
	ds_read_b64 v[15:16], v0
	s_waitcnt lgkmcnt(1)
	v_add_u32_e32 v18, v26, v27
	v_mul_f32_e32 v7, 0x4f7ffffe, v7
	v_cvt_u32_f32_e32 v7, v7
	v_mul_lo_u32 v11, v11, v7
	v_mul_hi_u32 v11, v7, v11
	v_add_u32_e32 v7, v7, v11
	v_mul_hi_u32 v11, v18, v7
	v_mul_lo_u32 v11, v11, v6
	v_sub_u32_e32 v11, v18, v11
	v_sub_u32_e32 v18, v11, v6
	v_cmp_ge_u32_e32 vcc, v11, v6
	v_cndmask_b32_e32 v11, v11, v18, vcc
	v_sub_u32_e32 v18, v11, v6
	v_cmp_ge_u32_e32 vcc, v11, v6
	v_cndmask_b32_e32 v18, v11, v18, vcc
	v_ashrrev_i32_e32 v19, 31, v18
	v_lshlrev_b64 v[18:19], 3, v[18:19]
	v_sub_u32_e32 v11, v6, v27
	s_waitcnt lgkmcnt(0)
	v_add_co_u32_e32 v18, vcc, v15, v18
	v_addc_co_u32_e32 v19, vcc, v16, v19, vcc
	flat_load_dwordx2 v[22:23], v[18:19]
	v_add_u32_e32 v11, v11, v26
	v_mul_hi_u32 v7, v11, v7
	v_mul_lo_u32 v7, v7, v6
	v_sub_u32_e32 v7, v11, v7
	v_sub_u32_e32 v11, v7, v6
	s_waitcnt vmcnt(0) lgkmcnt(0)
	flat_load_dwordx2 v[18:19], v[22:23] offset:608
	v_add_co_u32_e32 v20, vcc, s51, v22
	v_addc_co_u32_e32 v21, vcc, 0, v23, vcc
	v_cmp_ge_u32_e32 vcc, v7, v6
	v_cndmask_b32_e32 v7, v7, v11, vcc
	v_sub_u32_e32 v11, v7, v6
	v_cmp_ge_u32_e32 vcc, v7, v6
	v_cndmask_b32_e32 v6, v7, v11, vcc
	v_ashrrev_i32_e32 v7, 31, v6
	v_lshlrev_b64 v[6:7], 3, v[6:7]
	v_add_co_u32_e32 v6, vcc, v15, v6
	v_addc_co_u32_e32 v7, vcc, v16, v7, vcc
	s_waitcnt vmcnt(0) lgkmcnt(0)
	ds_write2_b64 v0, v[18:19], v[20:21] offset1:1
	flat_load_dwordx2 v[24:25], v[22:23] offset:520
	flat_load_dwordx4 v[18:21], v[22:23] offset:552
	s_waitcnt vmcnt(0) lgkmcnt(0)
	ds_write_b64 v0, v[24:25]
	ds_write_b64 v0, v[18:19]
	flat_load_dwordx2 v[18:19], v[18:19] glc
	v_mov_b32_e32 v24, v10
	v_mov_b32_e32 v25, v10
	s_waitcnt vmcnt(0) lgkmcnt(0)
	ds_write2_b64 v0, v[18:19], v[24:25] offset1:1
	flat_load_dwordx2 v[6:7], v[6:7]
	s_waitcnt vmcnt(0) lgkmcnt(0)
	flat_load_dwordx2 v[15:16], v[6:7] offset:104
	flat_load_dword v11, v[22:23] offset:576
	s_waitcnt vmcnt(0) lgkmcnt(0)
	ds_write2_b64 v0, v[15:16], v[6:7] offset1:1
	flat_load_dwordx2 v[15:16], v[6:7] offset:96
	flat_load_dwordx2 v[18:19], v[6:7] offset:16
	ds_write_b64 v0, v[20:21]
	s_waitcnt vmcnt(0) lgkmcnt(0)
	ds_write2_b64 v0, v[15:16], v[18:19] offset1:1
	flat_load_dwordx4 v[18:21], v[6:7] offset:48
	ds_write_b32 v0, v11
	s_waitcnt vmcnt(0) lgkmcnt(0)
	ds_write_b64 v0, v[20:21]
	flat_load_dwordx2 v[20:21], v[20:21] glc
	v_mov_b32_e32 v11, v10
	s_waitcnt vmcnt(0) lgkmcnt(0)
	ds_write2_b64 v0, v[18:19], v[20:21] offset1:1
	flat_load_dword v6, v[6:7] offset:72
	ds_write_b64 v0, v[10:11]
	s_waitcnt vmcnt(0) lgkmcnt(0)
	ds_write_b32 v0, v6
.LBB7_31:                               ;   in Loop: Header=BB7_4 Depth=1
	s_or_b64 exec, exec, s[16:17]
	v_cmp_eq_u32_e32 vcc, 0, v13
	s_trap 2
	s_and_saveexec_b64 s[16:17], vcc
	s_cbranch_execz .LBB7_33
; %bb.32:                               ;   in Loop: Header=BB7_4 Depth=1
	ds_write2_b64 v0, v[2:3], v[0:1] offset0:87 offset1:88
	ds_write_b64 v0, v[4:5]
	s_trap 2
.LBB7_33:                               ;   in Loop: Header=BB7_4 Depth=1
	s_or_b64 exec, exec, s[16:17]
	v_cmp_ne_u32_e64 s[16:17], v36, v29
                                        ; implicit-def: $sgpr56_sgpr57
                                        ; implicit-def: $vgpr15_vgpr16
	s_and_saveexec_b64 s[18:19], s[16:17]
	s_xor_b64 s[18:19], exec, s[18:19]
	s_cbranch_execz .LBB7_49
; %bb.34:                               ;   in Loop: Header=BB7_4 Depth=1
	v_mov_b32_e32 v15, 0
	v_mov_b32_e32 v16, 0
	s_mov_b64 s[56:57], 0
	s_and_saveexec_b64 s[20:21], s[14:15]
	s_cbranch_execz .LBB7_48
; %bb.35:                               ;   in Loop: Header=BB7_4 Depth=1
	s_mov_b64 s[24:25], exec
	v_mbcnt_lo_u32_b32 v0, s24, 0
	v_mbcnt_hi_u32_b32 v0, s25, v0
	v_cmp_eq_u32_e32 vcc, 0, v0
	s_waitcnt lgkmcnt(0)
	buffer_wbinvl1_vol
	s_and_saveexec_b64 s[22:23], vcc
	s_cbranch_execz .LBB7_37
; %bb.36:                               ;   in Loop: Header=BB7_4 Depth=1
	s_bcnt1_i32_b64 s24, s[24:25]
	v_mov_b32_e32 v0, s24
	v_mov_b32_e32 v1, v10
	ds_add_u64 v0, v[0:1]
	s_trap 2
.LBB7_37:                               ;   in Loop: Header=BB7_4 Depth=1
	s_or_b64 exec, exec, s[22:23]
	s_trap 2
	ds_read_b64 v[0:1], v0
	s_waitcnt lgkmcnt(0)
	v_cmp_lt_u64_e32 vcc, 1, v[0:1]
	s_cbranch_vccnz .LBB7_47
; %bb.38:                               ;   in Loop: Header=BB7_4 Depth=1
	s_mov_b32 s60, 0
	s_mov_b64 s[22:23], 0
                                        ; implicit-def: $sgpr24_sgpr25
                                        ; implicit-def: $sgpr26_sgpr27
	s_branch .LBB7_40
.LBB7_39:                               ;   in Loop: Header=BB7_40 Depth=2
	s_or_b64 exec, exec, s[56:57]
	s_and_b64 s[28:29], exec, s[58:59]
	s_or_b64 s[22:23], s[28:29], s[22:23]
	s_andn2_b64 s[24:25], s[24:25], exec
	s_and_b64 s[28:29], s[26:27], exec
	s_or_b64 s[24:25], s[24:25], s[28:29]
	s_andn2_b64 exec, exec, s[22:23]
	s_cbranch_execz .LBB7_44
.LBB7_40:                               ;   Parent Loop BB7_4 Depth=1
                                        ; =>  This Inner Loop Header: Depth=2
	s_add_i32 s60, s60, 1
	s_cmpk_lg_i32 s60, 0x2710
	s_cselect_b64 s[28:29], -1, 0
	s_and_b64 vcc, exec, s[28:29]
	s_cbranch_vccz .LBB7_42
; %bb.41:                               ;   in Loop: Header=BB7_40 Depth=2
	s_mov_b64 s[58:59], -1
	s_or_b64 s[26:27], s[26:27], exec
	s_and_saveexec_b64 s[56:57], s[28:29]
	s_cbranch_execz .LBB7_39
	s_branch .LBB7_43
.LBB7_42:                               ;   in Loop: Header=BB7_40 Depth=2
	s_trap 2
	ds_read_b64 v[0:1], v0
	s_andn2_b64 s[28:29], s[28:29], exec
	s_mov_b32 s60, 0
	s_waitcnt lgkmcnt(0)
	flat_load_dword v0, v[0:1] glc
	s_waitcnt vmcnt(0) lgkmcnt(0)
	buffer_wbinvl1_vol
	v_cmp_eq_u32_e32 vcc, 0, v0
	s_and_b64 s[56:57], vcc, exec
	s_or_b64 s[28:29], s[28:29], s[56:57]
	s_mov_b64 s[58:59], -1
	s_or_b64 s[26:27], s[26:27], exec
	s_and_saveexec_b64 s[56:57], s[28:29]
	s_cbranch_execz .LBB7_39
.LBB7_43:                               ;   in Loop: Header=BB7_40 Depth=2
	s_sleep 1
	s_trap 2
	ds_read_b64 v[0:1], v0
	s_waitcnt lgkmcnt(0)
	s_andn2_b64 s[26:27], s[26:27], exec
	v_cmp_lt_u64_e32 vcc, 1, v[0:1]
	s_orn2_b64 s[58:59], vcc, exec
	s_branch .LBB7_39
.LBB7_44:                               ;   in Loop: Header=BB7_4 Depth=1
	s_or_b64 exec, exec, s[22:23]
	s_and_saveexec_b64 s[22:23], s[24:25]
	s_xor_b64 s[22:23], exec, s[22:23]
	s_cbranch_execz .LBB7_46
; %bb.45:                               ;   in Loop: Header=BB7_4 Depth=1
	ds_write_b32 v0, v32
	s_trap 2
.LBB7_46:                               ;   in Loop: Header=BB7_4 Depth=1
	s_or_b64 exec, exec, s[22:23]
.LBB7_47:                               ;   in Loop: Header=BB7_4 Depth=1
	v_mov_b32_e32 v15, 2
	s_mov_b64 s[56:57], exec
	v_mov_b32_e32 v16, 0
	;;#ASMSTART
	s_wakeup
	;;#ASMEND
.LBB7_48:                               ;   in Loop: Header=BB7_4 Depth=1
	s_or_b64 exec, exec, s[20:21]
.LBB7_49:                               ;   in Loop: Header=BB7_4 Depth=1
	s_andn2_saveexec_b64 s[18:19], s[18:19]
	s_cbranch_execz .LBB7_51
; %bb.50:                               ;   in Loop: Header=BB7_4 Depth=1
	v_mov_b32_e32 v15, 0
	s_andn2_b64 s[20:21], s[56:57], exec
	s_and_b64 s[22:23], s[14:15], exec
	v_mov_b32_e32 v16, 0
	s_or_b64 s[56:57], s[20:21], s[22:23]
	s_waitcnt lgkmcnt(0)
	buffer_wbinvl1_vol
	s_barrier
.LBB7_51:                               ;   in Loop: Header=BB7_4 Depth=1
	s_or_b64 exec, exec, s[18:19]
	v_mul_f32_e32 v2, 0x43000000, v17
	v_trunc_f32_e32 v2, v2
	v_cvt_i32_f32_e32 v3, v2
	v_and_b32_e32 v0, 0x7fffffff, v9
	v_ashrrev_i32_e32 v1, 30, v36
	v_mad_f32 v2, -v2, v9, s37
	v_or_b32_e32 v1, 1, v1
	v_cmp_ge_f32_e64 vcc, |v2|, v0
	v_cndmask_b32_e32 v0, 0, v1, vcc
	v_add_u32_e32 v11, v3, v0
	v_add_u32_e32 v38, 0x318, v0
	;; [unrolled: 1-line block ×3, first 2 shown]
	v_lshrrev_b32_e32 v0, 26, v14
	v_add_u32_e32 v0, v13, v0
	v_ashrrev_i32_e32 v14, 6, v0
	v_and_b32_e32 v0, 0xffffffc0, v0
	v_sub_u32_e32 v48, v13, v0
	v_lshl_add_u32 v49, v48, 3, v0
	v_lshlrev_b32_e32 v0, 11, v14
	v_lshl_add_u32 v19, v48, 4, v0
	v_lshlrev_b32_e32 v50, 11, v12
	v_lshlrev_b32_e32 v52, 10, v12
	;; [unrolled: 1-line block ×3, first 2 shown]
	v_cmp_gt_i32_e64 s[18:19], 1, v48
	v_ashrrev_i32_e32 v20, 31, v19
	v_ashrrev_i32_e32 v51, 31, v50
	;; [unrolled: 1-line block ×5, first 2 shown]
	v_cmp_eq_u32_e64 s[20:21], v30, v8
	s_mov_b64 s[58:59], 0
                                        ; implicit-def: $vgpr17_vgpr18
	s_branch .LBB7_53
.LBB7_52:                               ;   in Loop: Header=BB7_53 Depth=2
	s_or_b64 exec, exec, s[22:23]
	s_waitcnt lgkmcnt(0)
	v_cmp_ne_u32_e32 vcc, 0, v41
	s_or_b64 s[58:59], vcc, s[58:59]
	v_add_u32_sdwa v37, v37, sext(v11) dst_sel:DWORD dst_unused:UNUSED_PAD src0_sel:DWORD src1_sel:WORD_0
	s_andn2_b64 exec, exec, s[58:59]
	s_cbranch_execz .LBB7_229
.LBB7_53:                               ;   Parent Loop BB7_4 Depth=1
                                        ; =>  This Loop Header: Depth=2
                                        ;       Child Loop BB7_54 Depth 3
                                        ;       Child Loop BB7_86 Depth 3
	;; [unrolled: 1-line block ×12, first 2 shown]
	s_mov_b64 s[22:23], 0
	s_trap 2
.LBB7_54:                               ;   Parent Loop BB7_4 Depth=1
                                        ;     Parent Loop BB7_53 Depth=2
                                        ; =>    This Inner Loop Header: Depth=3
	ds_read_b32 v0, v0 offset:36
	s_waitcnt lgkmcnt(0)
	v_cmp_ne_u32_e32 vcc, 0, v0
	s_or_b64 s[22:23], vcc, s[22:23]
	s_andn2_b64 exec, exec, s[22:23]
	s_cbranch_execnz .LBB7_54
; %bb.55:                               ;   in Loop: Header=BB7_53 Depth=2
	s_or_b64 exec, exec, s[22:23]
	ds_read_b32 v41, v0 offset:32
	v_and_b32_e32 v0, 2, v0
	v_cmp_ne_u32_e32 vcc, 0, v0
	s_and_saveexec_b64 s[22:23], vcc
	s_xor_b64 s[22:23], exec, s[22:23]
	s_cbranch_execnz .LBB7_58
; %bb.56:                               ;   in Loop: Header=BB7_53 Depth=2
	s_andn2_saveexec_b64 s[60:61], s[22:23]
	s_cbranch_execnz .LBB7_64
.LBB7_57:                               ;   in Loop: Header=BB7_53 Depth=2
	s_or_b64 exec, exec, s[60:61]
	s_and_saveexec_b64 s[22:23], s[20:21]
	s_cbranch_execz .LBB7_52
	s_branch .LBB7_203
.LBB7_58:                               ;   in Loop: Header=BB7_53 Depth=2
	s_and_saveexec_b64 s[24:25], s[16:17]
	s_xor_b64 s[24:25], exec, s[24:25]
	s_cbranch_execnz .LBB7_80
; %bb.59:                               ;   in Loop: Header=BB7_53 Depth=2
	s_andn2_saveexec_b64 s[24:25], s[24:25]
	s_cbranch_execnz .LBB7_153
.LBB7_60:                               ;   in Loop: Header=BB7_53 Depth=2
	s_or_b64 exec, exec, s[24:25]
	s_and_saveexec_b64 s[24:25], s[16:17]
	s_xor_b64 s[24:25], exec, s[24:25]
	s_cbranch_execnz .LBB7_154
.LBB7_61:                               ;   in Loop: Header=BB7_53 Depth=2
	s_andn2_saveexec_b64 s[24:25], s[24:25]
	s_cbranch_execz .LBB7_63
.LBB7_62:                               ;   in Loop: Header=BB7_53 Depth=2
	s_waitcnt vmcnt(0) lgkmcnt(0)
	buffer_wbinvl1_vol
	s_barrier
.LBB7_63:                               ;   in Loop: Header=BB7_53 Depth=2
	s_or_b64 exec, exec, s[24:25]
	s_andn2_saveexec_b64 s[60:61], s[22:23]
	s_cbranch_execz .LBB7_57
.LBB7_64:                               ;   in Loop: Header=BB7_53 Depth=2
	ds_read_b64 v[4:5], v0
	ds_read2_b64 v[0:3], v0 offset0:87 offset1:88
	v_mov_b32_e32 v42, -1
	s_waitcnt lgkmcnt(0)
	ds_read_b32 v6, v0 offset:28
	ds_read2_b32 v[21:22], v0 offset0:5 offset1:6
	v_cmp_lt_i32_e32 vcc, -1, v4
	v_and_b32_e32 v4, 36, v35
	v_cmp_ne_u32_e64 s[22:23], 0, v4
	s_and_b64 s[62:63], vcc, s[22:23]
	s_and_saveexec_b64 s[22:23], s[62:63]
	s_cbranch_execz .LBB7_66
; %bb.65:                               ;   in Loop: Header=BB7_53 Depth=2
	s_trap 2
	ds_read_b64 v[17:18], v0
                                        ; implicit-def: $vgpr42
.LBB7_66:                               ;   in Loop: Header=BB7_53 Depth=2
	s_or_b64 exec, exec, s[22:23]
	v_and_b32_e32 v4, 24, v35
	v_cmp_lt_i32_e32 vcc, -1, v5
	v_cmp_ne_u32_e64 s[22:23], 0, v4
	s_and_b64 s[72:73], vcc, s[22:23]
	s_and_saveexec_b64 s[22:23], s[72:73]
	s_cbranch_execz .LBB7_68
; %bb.67:                               ;   in Loop: Header=BB7_53 Depth=2
	s_trap 2
	s_waitcnt lgkmcnt(0)
	ds_read_b64 v[17:18], v0
                                        ; implicit-def: $vgpr42
.LBB7_68:                               ;   in Loop: Header=BB7_53 Depth=2
	s_or_b64 exec, exec, s[22:23]
	v_and_b32_e32 v4, 4, v35
	v_cmp_ne_u32_e32 vcc, 0, v4
	s_waitcnt lgkmcnt(0)
	v_max_i32_e32 v43, 0, v6
	s_and_b64 s[22:23], s[62:63], vcc
	s_and_saveexec_b64 s[24:25], s[22:23]
	s_cbranch_execz .LBB7_98
; %bb.69:                               ;   in Loop: Header=BB7_53 Depth=2
	ds_read2_b32 v[4:5], v0 offset0:2 offset1:4
	ds_read2_b64 v[6:9], v42 offset0:3 offset1:6
	ds_read_b32 v23, v42 offset:64
	s_waitcnt lgkmcnt(0)
	v_add_u32_e32 v24, v17, v5
	v_and_b32_e32 v24, 7, v24
	s_waitcnt lgkmcnt(0)
	v_mad_i64_i32 v[23:24], s[22:23], v24, v23, v[6:7]
	v_ashrrev_i32_e32 v7, 31, v4
	v_mov_b32_e32 v6, v5
	v_add_co_u32_e32 v23, vcc, v23, v4
	v_addc_co_u32_e32 v24, vcc, v24, v7, vcc
	v_add_co_u32_e32 v25, vcc, 1, v17
	v_addc_co_u32_e32 v26, vcc, 0, v18, vcc
	v_ashrrev_i32_e32 v7, 31, v5
	v_add_co_u32_e32 v4, vcc, v25, v5
	v_addc_co_u32_e32 v5, vcc, v26, v7, vcc
	v_cmp_lt_u64_e32 vcc, v[8:9], v[4:5]
	v_mov_b32_e32 v4, v6
	v_mov_b32_e32 v5, v7
	ds_write_b64 v0, v[23:24] offset:720
	s_and_saveexec_b64 s[26:27], vcc
	s_cbranch_execz .LBB7_93
; %bb.70:                               ;   in Loop: Header=BB7_53 Depth=2
	v_and_b32_e32 v7, 64, v35
	s_mov_b32 s55, 0
	v_cmp_eq_u32_e32 vcc, 0, v7
	s_mov_b64 s[28:29], 0
                                        ; implicit-def: $sgpr74_sgpr75
                                        ; implicit-def: $sgpr76_sgpr77
                                        ; implicit-def: $sgpr78_sgpr79
	s_branch .LBB7_73
.LBB7_71:                               ;   in Loop: Header=BB7_73 Depth=3
	s_or_b64 exec, exec, s[30:31]
	s_andn2_b64 s[22:23], s[78:79], exec
	s_and_b64 s[78:79], s[92:93], exec
	s_or_b64 s[78:79], s[22:23], s[78:79]
	s_andn2_b64 s[22:23], s[76:77], exec
	s_and_b64 s[76:77], s[90:91], exec
	s_or_b64 s[76:77], s[22:23], s[76:77]
.LBB7_72:                               ;   in Loop: Header=BB7_73 Depth=3
	s_or_b64 exec, exec, s[88:89]
	s_and_b64 s[22:23], exec, s[76:77]
	s_or_b64 s[28:29], s[22:23], s[28:29]
	s_andn2_b64 s[22:23], s[74:75], exec
	s_and_b64 s[74:75], s[78:79], exec
	s_or_b64 s[74:75], s[22:23], s[74:75]
	s_andn2_b64 exec, exec, s[28:29]
	s_cbranch_execz .LBB7_90
.LBB7_73:                               ;   Parent Loop BB7_4 Depth=1
                                        ;     Parent Loop BB7_53 Depth=2
                                        ; =>    This Inner Loop Header: Depth=3
	s_waitcnt lgkmcnt(0)
	ds_read_b64 v[7:8], v42 offset:40
	v_mov_b32_e32 v24, v5
	s_or_b64 s[78:79], s[78:79], exec
	s_or_b64 s[76:77], s[76:77], exec
	v_mov_b32_e32 v23, v4
	s_waitcnt lgkmcnt(0)
	flat_load_dwordx2 v[8:9], v[7:8] glc
                                        ; implicit-def: $vgpr27
	s_waitcnt vmcnt(0) lgkmcnt(0)
	ds_write_b64 v42, v[8:9] offset:48
	s_and_saveexec_b64 s[88:89], vcc
	s_cbranch_execz .LBB7_72
; %bb.74:                               ;   in Loop: Header=BB7_73 Depth=3
	s_cmpk_gt_i32 s55, 0x270e
	s_mov_b64 s[90:91], -1
	s_cbranch_scc0 .LBB7_78
; %bb.75:                               ;   in Loop: Header=BB7_73 Depth=3
	s_trap 2
	ds_read_b64 v[6:7], v0
	s_mov_b64 s[92:93], 0
	s_mov_b64 s[94:95], 0
                                        ; implicit-def: $vgpr8_vgpr9
	s_waitcnt lgkmcnt(0)
	flat_load_dword v27, v[6:7] glc
	s_waitcnt vmcnt(0) lgkmcnt(0)
	buffer_wbinvl1_vol
                                        ; implicit-def: $vgpr6
	v_cmp_eq_u32_e64 s[22:23], 0, v27
	s_and_saveexec_b64 s[30:31], s[22:23]
	s_cbranch_execz .LBB7_77
; %bb.76:                               ;   in Loop: Header=BB7_73 Depth=3
	ds_read_b64 v[8:9], v42 offset:48
	ds_read_b32 v6, v0 offset:16
	s_mov_b64 s[94:95], exec
.LBB7_77:                               ;   in Loop: Header=BB7_73 Depth=3
	s_or_b64 exec, exec, s[30:31]
	s_mov_b32 s55, 0
                                        ; implicit-def: $vgpr23_vgpr24
	s_and_saveexec_b64 s[30:31], s[94:95]
	s_cbranch_execz .LBB7_71
	s_branch .LBB7_79
.LBB7_78:                               ;   in Loop: Header=BB7_73 Depth=3
	s_add_i32 s55, s55, 1
	s_mov_b64 s[94:95], -1
	s_mov_b64 s[92:93], -1
                                        ; implicit-def: $vgpr27
                                        ; implicit-def: $vgpr23_vgpr24
	s_and_saveexec_b64 s[30:31], s[94:95]
	s_cbranch_execz .LBB7_71
.LBB7_79:                               ;   in Loop: Header=BB7_73 Depth=3
	s_waitcnt lgkmcnt(0)
	v_ashrrev_i32_e32 v7, 31, v6
	v_add_co_u32_e64 v23, s[22:23], v25, v6
	v_addc_co_u32_e64 v24, s[22:23], v26, v7, s[22:23]
	v_cmp_ge_u64_e64 s[22:23], v[8:9], v[23:24]
	v_mov_b32_e32 v24, v7
	s_or_b64 s[92:93], s[92:93], exec
	s_orn2_b64 s[90:91], s[22:23], exec
	v_mov_b32_e32 v23, v6
	s_branch .LBB7_71
.LBB7_80:                               ;   in Loop: Header=BB7_53 Depth=2
	s_and_saveexec_b64 s[26:27], s[56:57]
	s_cbranch_execz .LBB7_152
; %bb.81:                               ;   in Loop: Header=BB7_53 Depth=2
	s_mov_b64 s[60:61], exec
	v_mbcnt_lo_u32_b32 v0, s60, 0
	v_mbcnt_hi_u32_b32 v0, s61, v0
	v_cmp_eq_u32_e32 vcc, 0, v0
	s_waitcnt vmcnt(0) lgkmcnt(0)
	buffer_wbinvl1_vol
	s_and_saveexec_b64 s[28:29], vcc
	s_cbranch_execz .LBB7_83
; %bb.82:                               ;   in Loop: Header=BB7_53 Depth=2
	s_bcnt1_i32_b64 s60, s[60:61]
	v_mov_b32_e32 v0, s60
	v_mov_b32_e32 v1, v10
	ds_add_u64 v0, v[0:1]
	s_trap 2
.LBB7_83:                               ;   in Loop: Header=BB7_53 Depth=2
	s_or_b64 exec, exec, s[28:29]
	s_trap 2
	ds_read_b64 v[0:1], v0
	s_waitcnt lgkmcnt(0)
	v_add_co_u32_e32 v15, vcc, 2, v15
	v_addc_co_u32_e32 v16, vcc, 0, v16, vcc
	v_cmp_lt_u64_e32 vcc, v[0:1], v[15:16]
	s_and_saveexec_b64 s[28:29], vcc
	s_cbranch_execz .LBB7_151
; %bb.84:                               ;   in Loop: Header=BB7_53 Depth=2
	s_mov_b32 s88, 0
	s_mov_b64 s[60:61], 0
                                        ; implicit-def: $sgpr62_sgpr63
                                        ; implicit-def: $sgpr72_sgpr73
	s_branch .LBB7_86
.LBB7_85:                               ;   in Loop: Header=BB7_86 Depth=3
	s_or_b64 exec, exec, s[76:77]
	s_and_b64 s[74:75], exec, s[78:79]
	s_or_b64 s[60:61], s[74:75], s[60:61]
	s_andn2_b64 s[62:63], s[62:63], exec
	s_and_b64 s[74:75], s[72:73], exec
	s_or_b64 s[62:63], s[62:63], s[74:75]
	s_andn2_b64 exec, exec, s[60:61]
	s_cbranch_execz .LBB7_149
.LBB7_86:                               ;   Parent Loop BB7_4 Depth=1
                                        ;     Parent Loop BB7_53 Depth=2
                                        ; =>    This Inner Loop Header: Depth=3
	s_add_i32 s88, s88, 1
	s_cmpk_lg_i32 s88, 0x2710
	s_cselect_b64 s[74:75], -1, 0
	s_and_b64 vcc, exec, s[74:75]
	s_cbranch_vccz .LBB7_88
; %bb.87:                               ;   in Loop: Header=BB7_86 Depth=3
	s_mov_b64 s[78:79], -1
	s_or_b64 s[72:73], s[72:73], exec
	s_and_saveexec_b64 s[76:77], s[74:75]
	s_cbranch_execz .LBB7_85
	s_branch .LBB7_89
.LBB7_88:                               ;   in Loop: Header=BB7_86 Depth=3
	s_trap 2
	ds_read_b64 v[0:1], v0
	s_andn2_b64 s[74:75], s[74:75], exec
	s_mov_b32 s88, 0
	s_waitcnt lgkmcnt(0)
	flat_load_dword v0, v[0:1] glc
	s_waitcnt vmcnt(0) lgkmcnt(0)
	buffer_wbinvl1_vol
	v_cmp_eq_u32_e32 vcc, 0, v0
	s_and_b64 s[76:77], vcc, exec
	s_or_b64 s[74:75], s[74:75], s[76:77]
	s_mov_b64 s[78:79], -1
	s_or_b64 s[72:73], s[72:73], exec
	s_and_saveexec_b64 s[76:77], s[74:75]
	s_cbranch_execz .LBB7_85
.LBB7_89:                               ;   in Loop: Header=BB7_86 Depth=3
	s_sleep 1
	s_trap 2
	ds_read_b64 v[0:1], v0
	s_waitcnt lgkmcnt(0)
	s_andn2_b64 s[72:73], s[72:73], exec
	v_cmp_ge_u64_e32 vcc, v[0:1], v[15:16]
	s_orn2_b64 s[78:79], vcc, exec
	s_branch .LBB7_85
.LBB7_90:                               ;   in Loop: Header=BB7_53 Depth=2
	s_or_b64 exec, exec, s[28:29]
	s_xor_b64 s[22:23], s[74:75], -1
	s_and_saveexec_b64 s[28:29], s[22:23]
	s_xor_b64 s[22:23], exec, s[28:29]
	s_cbranch_execz .LBB7_92
; %bb.91:                               ;   in Loop: Header=BB7_53 Depth=2
	s_waitcnt lgkmcnt(0)
	ds_write_b32 v0, v27
	s_trap 2
	ds_read_b32 v23, v0 offset:16
	v_or_b32_e32 v35, 64, v35
	s_waitcnt lgkmcnt(0)
	v_ashrrev_i32_e32 v24, 31, v23
.LBB7_92:                               ;   in Loop: Header=BB7_53 Depth=2
	s_or_b64 exec, exec, s[22:23]
	v_mov_b32_e32 v4, v23
	v_mov_b32_e32 v5, v24
.LBB7_93:                               ;   in Loop: Header=BB7_53 Depth=2
	s_or_b64 exec, exec, s[26:27]
	s_waitcnt lgkmcnt(0)
	ds_read_b32 v8, v0 offset:8
	s_waitcnt lgkmcnt(1)
	ds_read_b64 v[6:7], v42 offset:56
	ds_read_b32 v23, v42 offset:64
	v_add_co_u32_e32 v4, vcc, v17, v4
	s_waitcnt lgkmcnt(0)
	v_add_u32_e32 v8, v8, v43
	v_ashrrev_i32_e32 v9, 31, v8
	v_addc_co_u32_e32 v24, vcc, v18, v5, vcc
	s_waitcnt lgkmcnt(0)
	v_ashrrev_i32_e32 v5, 31, v23
	v_mul_lo_u32 v25, v4, v5
	v_mad_u64_u32 v[4:5], s[22:23], v4, v23, v[8:9]
	v_mul_lo_u32 v8, v24, v23
	v_add3_u32 v5, v8, v5, v25
	v_cmp_ge_u64_e32 vcc, v[6:7], v[4:5]
                                        ; implicit-def: $vgpr4_vgpr5
	s_and_saveexec_b64 s[22:23], vcc
	s_xor_b64 s[22:23], exec, s[22:23]
; %bb.94:                               ;   in Loop: Header=BB7_53 Depth=2
	ds_read_b64 v[4:5], v0 offset:720
; %bb.95:                               ;   in Loop: Header=BB7_53 Depth=2
	s_andn2_saveexec_b64 s[22:23], s[22:23]
	s_cbranch_execz .LBB7_97
; %bb.96:                               ;   in Loop: Header=BB7_53 Depth=2
	s_waitcnt lgkmcnt(0)
	ds_read_b64 v[4:5], v0 offset:48
	s_waitcnt lgkmcnt(0)
	v_add_co_u32_e32 v4, vcc, v2, v4
	v_addc_co_u32_e32 v5, vcc, v3, v5, vcc
.LBB7_97:                               ;   in Loop: Header=BB7_53 Depth=2
	s_or_b64 exec, exec, s[22:23]
	s_waitcnt lgkmcnt(0)
	ds_write_b64 v38, v[4:5]
.LBB7_98:                               ;   in Loop: Header=BB7_53 Depth=2
	s_or_b64 exec, exec, s[24:25]
	v_and_b32_e32 v4, 8, v35
	v_cmp_ne_u32_e32 vcc, 0, v4
	s_and_b64 s[22:23], s[72:73], vcc
	s_and_saveexec_b64 s[24:25], s[22:23]
	s_cbranch_execz .LBB7_114
; %bb.99:                               ;   in Loop: Header=BB7_53 Depth=2
	ds_read_b64 v[4:5], v42 offset:48
	s_waitcnt lgkmcnt(0)
	v_add_co_u32_e32 v6, vcc, 8, v4
	v_addc_co_u32_e32 v7, vcc, 0, v5, vcc
	v_add_co_u32_e32 v4, vcc, 1, v17
	v_addc_co_u32_e32 v5, vcc, 0, v18, vcc
	v_cmp_lt_u64_e32 vcc, v[6:7], v[4:5]
	s_and_saveexec_b64 s[26:27], vcc
	s_cbranch_execz .LBB7_113
; %bb.100:                              ;   in Loop: Header=BB7_53 Depth=2
	v_and_b32_e32 v6, 64, v35
	s_mov_b32 s55, 0
	v_cmp_eq_u32_e32 vcc, 0, v6
	s_mov_b64 s[28:29], 0
                                        ; implicit-def: $sgpr74_sgpr75
                                        ; implicit-def: $sgpr76_sgpr77
                                        ; implicit-def: $sgpr78_sgpr79
	s_branch .LBB7_103
.LBB7_101:                              ;   in Loop: Header=BB7_103 Depth=3
	s_or_b64 exec, exec, s[30:31]
	s_andn2_b64 s[22:23], s[78:79], exec
	s_and_b64 s[78:79], s[92:93], exec
	s_or_b64 s[78:79], s[22:23], s[78:79]
	s_andn2_b64 s[22:23], s[76:77], exec
	s_and_b64 s[76:77], s[90:91], exec
	s_or_b64 s[76:77], s[22:23], s[76:77]
.LBB7_102:                              ;   in Loop: Header=BB7_103 Depth=3
	s_or_b64 exec, exec, s[88:89]
	s_and_b64 s[22:23], exec, s[76:77]
	s_or_b64 s[28:29], s[22:23], s[28:29]
	s_andn2_b64 s[22:23], s[74:75], exec
	s_and_b64 s[74:75], s[78:79], exec
	s_or_b64 s[74:75], s[22:23], s[74:75]
	s_andn2_b64 exec, exec, s[28:29]
	s_cbranch_execz .LBB7_110
.LBB7_103:                              ;   Parent Loop BB7_4 Depth=1
                                        ;     Parent Loop BB7_53 Depth=2
                                        ; =>    This Inner Loop Header: Depth=3
	s_waitcnt lgkmcnt(0)
	ds_read_b64 v[6:7], v42 offset:32
	s_or_b64 s[78:79], s[78:79], exec
	s_or_b64 s[76:77], s[76:77], exec
                                        ; implicit-def: $vgpr8
	s_waitcnt lgkmcnt(0)
	flat_load_dwordx2 v[6:7], v[6:7] glc
	s_waitcnt vmcnt(0) lgkmcnt(0)
	ds_write_b64 v42, v[6:7] offset:48
	s_and_saveexec_b64 s[88:89], vcc
	s_cbranch_execz .LBB7_102
; %bb.104:                              ;   in Loop: Header=BB7_103 Depth=3
	s_cmpk_gt_i32 s55, 0x270e
	s_mov_b64 s[90:91], -1
	s_cbranch_scc0 .LBB7_108
; %bb.105:                              ;   in Loop: Header=BB7_103 Depth=3
	s_trap 2
	ds_read_b64 v[6:7], v0
	s_mov_b64 s[92:93], 0
	s_mov_b64 s[94:95], 0
	s_waitcnt lgkmcnt(0)
	flat_load_dword v8, v[6:7] glc
	s_waitcnt vmcnt(0) lgkmcnt(0)
	buffer_wbinvl1_vol
                                        ; implicit-def: $vgpr6_vgpr7
	v_cmp_eq_u32_e64 s[22:23], 0, v8
	s_and_saveexec_b64 s[30:31], s[22:23]
; %bb.106:                              ;   in Loop: Header=BB7_103 Depth=3
	ds_read_b64 v[6:7], v42 offset:48
	s_mov_b64 s[94:95], exec
; %bb.107:                              ;   in Loop: Header=BB7_103 Depth=3
	s_or_b64 exec, exec, s[30:31]
	s_mov_b32 s55, 0
	s_and_saveexec_b64 s[30:31], s[94:95]
	s_cbranch_execz .LBB7_101
	s_branch .LBB7_109
.LBB7_108:                              ;   in Loop: Header=BB7_103 Depth=3
	s_add_i32 s55, s55, 1
	s_mov_b64 s[94:95], -1
	s_mov_b64 s[92:93], -1
                                        ; implicit-def: $vgpr8
	s_and_saveexec_b64 s[30:31], s[94:95]
	s_cbranch_execz .LBB7_101
.LBB7_109:                              ;   in Loop: Header=BB7_103 Depth=3
	s_waitcnt lgkmcnt(0)
	v_add_co_u32_e64 v6, s[22:23], 8, v6
	v_addc_co_u32_e64 v7, s[22:23], 0, v7, s[22:23]
	v_cmp_ge_u64_e64 s[22:23], v[6:7], v[4:5]
	s_or_b64 s[92:93], s[92:93], exec
	s_orn2_b64 s[90:91], s[22:23], exec
	s_branch .LBB7_101
.LBB7_110:                              ;   in Loop: Header=BB7_53 Depth=2
	s_or_b64 exec, exec, s[28:29]
	s_xor_b64 s[22:23], s[74:75], -1
	s_and_saveexec_b64 s[28:29], s[22:23]
	s_xor_b64 s[22:23], exec, s[28:29]
	s_cbranch_execz .LBB7_112
; %bb.111:                              ;   in Loop: Header=BB7_53 Depth=2
	v_or_b32_e32 v35, 64, v35
	s_waitcnt lgkmcnt(0)
	ds_write_b32 v0, v8
	s_trap 2
.LBB7_112:                              ;   in Loop: Header=BB7_53 Depth=2
	s_or_b64 exec, exec, s[22:23]
.LBB7_113:                              ;   in Loop: Header=BB7_53 Depth=2
	s_or_b64 exec, exec, s[26:27]
	ds_read_b64 v[4:5], v42 offset:24
	s_waitcnt lgkmcnt(0)
	ds_read_b32 v6, v42 offset:64
	ds_read_b32 v7, v0 offset:12
	v_and_b32_e32 v8, 7, v17
	s_waitcnt lgkmcnt(0)
	v_mad_i64_i32 v[4:5], s[22:23], v8, v6, v[4:5]
	s_waitcnt lgkmcnt(0)
	v_ashrrev_i32_e32 v6, 31, v7
	v_add_co_u32_e32 v4, vcc, v4, v7
	v_addc_co_u32_e32 v5, vcc, v5, v6, vcc
	ds_write_b64 v39, v[4:5]
.LBB7_114:                              ;   in Loop: Header=BB7_53 Depth=2
	s_or_b64 exec, exec, s[24:25]
	s_trap 2
	ds_read_b32 v4, v0
	ds_read_b64 v[23:24], v0
	v_and_b32_e32 v5, 1, v35
	v_cmp_eq_u32_e64 s[22:23], 1, v5
	s_waitcnt lgkmcnt(0)
	v_cmp_gt_i32_e32 vcc, 0, v4
	s_and_b64 s[26:27], vcc, s[22:23]
	s_and_saveexec_b64 s[24:25], s[26:27]
	s_cbranch_execnz .LBB7_124
; %bb.115:                              ;   in Loop: Header=BB7_53 Depth=2
	s_or_b64 exec, exec, s[24:25]
	s_and_saveexec_b64 s[24:25], s[16:17]
	s_xor_b64 s[24:25], exec, s[24:25]
	s_cbranch_execnz .LBB7_127
.LBB7_116:                              ;   in Loop: Header=BB7_53 Depth=2
	s_andn2_saveexec_b64 s[24:25], s[24:25]
	s_cbranch_execz .LBB7_118
.LBB7_117:                              ;   in Loop: Header=BB7_53 Depth=2
	s_waitcnt vmcnt(0) lgkmcnt(0)
	buffer_wbinvl1_vol
	s_barrier
.LBB7_118:                              ;   in Loop: Header=BB7_53 Depth=2
	s_or_b64 exec, exec, s[24:25]
	ds_read_b32 v5, v0 offset:4
	ds_read2_b64 v[0:3], v0 offset0:90 offset1:99
	s_trap 2
	s_mov_b64 s[28:29], -1
	s_waitcnt lgkmcnt(0)
	ds_read_b32 v4, v0
	s_and_saveexec_b64 s[24:25], s[18:19]
	s_cbranch_execz .LBB7_120
; %bb.119:                              ;   in Loop: Header=BB7_53 Depth=2
	ds_read_b32 v6, v49 offset:720
	s_waitcnt lgkmcnt(0)
	v_and_b32_e32 v6, 15, v6
	v_cmp_eq_u32_e32 vcc, 0, v6
	s_orn2_b64 s[28:29], vcc, exec
.LBB7_120:                              ;   in Loop: Header=BB7_53 Depth=2
	s_or_b64 exec, exec, s[24:25]
	v_cmp_gt_i32_e64 s[24:25], 0, v5
	v_cmp_eq_u64_e32 vcc, v[0:1], v[2:3]
	v_cndmask_b32_e64 v5, 2, 1, s[24:25]
	v_subbrev_co_u32_e32 v45, vcc, 0, v5, vcc
	v_cndmask_b32_e64 v44, v39, v38, s[24:25]
	v_cmp_lt_i32_e32 vcc, v48, v45
	s_and_saveexec_b64 s[26:27], vcc
	s_cbranch_execz .LBB7_122
; %bb.121:                              ;   in Loop: Header=BB7_53 Depth=2
	v_lshl_add_u32 v2, v48, 3, v44
	ds_read_b32 v2, v2
	s_waitcnt lgkmcnt(0)
	v_and_b32_e32 v2, 15, v2
	v_cmp_eq_u32_e32 vcc, 0, v2
	s_and_b64 s[74:75], s[28:29], vcc
	s_andn2_b64 s[28:29], s[28:29], exec
	s_and_b64 s[74:75], s[74:75], exec
	s_or_b64 s[28:29], s[28:29], s[74:75]
.LBB7_122:                              ;   in Loop: Header=BB7_53 Depth=2
	s_or_b64 exec, exec, s[26:27]
	s_xor_b64 s[28:29], s[28:29], -1
	s_waitcnt lgkmcnt(0)
	v_cmp_eq_u32_e32 vcc, 0, v4
	v_cndmask_b32_e64 v2, 0, 1, s[28:29]
	v_cndmask_b32_e32 v46, 0, v43, vcc
	s_mov_b64 s[26:27], -1
	v_cmp_ne_u32_e32 vcc, 0, v2
	v_mov_b32_e32 v6, 0
	s_cbranch_vccz .LBB7_137
; %bb.123:                              ;   in Loop: Header=BB7_53 Depth=2
	v_mov_b32_e32 v7, v13
	v_mov_b32_e32 v4, v14
	s_and_saveexec_b64 s[28:29], s[26:27]
	s_cbranch_execnz .LBB7_177
	s_branch .LBB7_189
.LBB7_124:                              ;   in Loop: Header=BB7_53 Depth=2
	ds_read_b64 v[4:5], v0 offset:40
	s_waitcnt lgkmcnt(0)
	v_add_co_u32_e32 v0, vcc, v0, v4
	v_addc_co_u32_e32 v1, vcc, v1, v5, vcc
	v_add_co_u32_e32 v4, vcc, v4, v43
	v_addc_co_u32_e32 v5, vcc, 0, v5, vcc
	v_cmp_lt_u64_e32 vcc, v[23:24], v[4:5]
	ds_write_b64 v0, v[0:1] offset:720
	s_and_saveexec_b64 s[26:27], vcc
	s_cbranch_execz .LBB7_126
; %bb.125:                              ;   in Loop: Header=BB7_53 Depth=2
	ds_read_b64 v[0:1], v0 offset:48
	v_mov_b32_e32 v24, v5
	v_mov_b32_e32 v23, v4
	s_waitcnt lgkmcnt(0)
	v_add_co_u32_e32 v0, vcc, v2, v0
	v_addc_co_u32_e32 v1, vcc, v3, v1, vcc
.LBB7_126:                              ;   in Loop: Header=BB7_53 Depth=2
	s_or_b64 exec, exec, s[26:27]
	ds_write_b64 v38, v[0:1]
	s_or_b64 exec, exec, s[24:25]
	s_and_saveexec_b64 s[24:25], s[16:17]
	s_xor_b64 s[24:25], exec, s[24:25]
	s_cbranch_execz .LBB7_116
.LBB7_127:                              ;   in Loop: Header=BB7_53 Depth=2
	s_and_saveexec_b64 s[26:27], s[56:57]
	s_cbranch_execz .LBB7_167
; %bb.128:                              ;   in Loop: Header=BB7_53 Depth=2
	s_mov_b64 s[74:75], exec
	v_mbcnt_lo_u32_b32 v0, s74, 0
	v_mbcnt_hi_u32_b32 v0, s75, v0
	v_cmp_eq_u32_e32 vcc, 0, v0
	s_waitcnt vmcnt(0) lgkmcnt(0)
	buffer_wbinvl1_vol
	s_and_saveexec_b64 s[28:29], vcc
	s_cbranch_execz .LBB7_130
; %bb.129:                              ;   in Loop: Header=BB7_53 Depth=2
	s_bcnt1_i32_b64 s74, s[74:75]
	v_mov_b32_e32 v0, s74
	v_mov_b32_e32 v1, v10
	ds_add_u64 v0, v[0:1]
	s_trap 2
.LBB7_130:                              ;   in Loop: Header=BB7_53 Depth=2
	s_or_b64 exec, exec, s[28:29]
	s_trap 2
	ds_read_b64 v[0:1], v0
	s_waitcnt lgkmcnt(0)
	v_add_co_u32_e32 v15, vcc, 2, v15
	v_addc_co_u32_e32 v16, vcc, 0, v16, vcc
	v_cmp_lt_u64_e32 vcc, v[0:1], v[15:16]
	s_and_saveexec_b64 s[28:29], vcc
	s_cbranch_execz .LBB7_166
; %bb.131:                              ;   in Loop: Header=BB7_53 Depth=2
	s_mov_b32 s94, 0
	s_mov_b64 s[74:75], 0
                                        ; implicit-def: $sgpr76_sgpr77
                                        ; implicit-def: $sgpr78_sgpr79
	s_branch .LBB7_133
.LBB7_132:                              ;   in Loop: Header=BB7_133 Depth=3
	s_or_b64 exec, exec, s[90:91]
	s_and_b64 s[88:89], exec, s[92:93]
	s_or_b64 s[74:75], s[88:89], s[74:75]
	s_andn2_b64 s[76:77], s[76:77], exec
	s_and_b64 s[88:89], s[78:79], exec
	s_or_b64 s[76:77], s[76:77], s[88:89]
	s_andn2_b64 exec, exec, s[74:75]
	s_cbranch_execz .LBB7_164
.LBB7_133:                              ;   Parent Loop BB7_4 Depth=1
                                        ;     Parent Loop BB7_53 Depth=2
                                        ; =>    This Inner Loop Header: Depth=3
	s_add_i32 s94, s94, 1
	s_cmpk_lg_i32 s94, 0x2710
	s_cselect_b64 s[88:89], -1, 0
	s_and_b64 vcc, exec, s[88:89]
	s_cbranch_vccz .LBB7_135
; %bb.134:                              ;   in Loop: Header=BB7_133 Depth=3
	s_mov_b64 s[92:93], -1
	s_or_b64 s[78:79], s[78:79], exec
	s_and_saveexec_b64 s[90:91], s[88:89]
	s_cbranch_execz .LBB7_132
	s_branch .LBB7_136
.LBB7_135:                              ;   in Loop: Header=BB7_133 Depth=3
	s_trap 2
	ds_read_b64 v[0:1], v0
	s_andn2_b64 s[88:89], s[88:89], exec
	s_mov_b32 s94, 0
	s_waitcnt lgkmcnt(0)
	flat_load_dword v0, v[0:1] glc
	s_waitcnt vmcnt(0) lgkmcnt(0)
	buffer_wbinvl1_vol
	v_cmp_eq_u32_e32 vcc, 0, v0
	s_and_b64 s[90:91], vcc, exec
	s_or_b64 s[88:89], s[88:89], s[90:91]
	s_mov_b64 s[92:93], -1
	s_or_b64 s[78:79], s[78:79], exec
	s_and_saveexec_b64 s[90:91], s[88:89]
	s_cbranch_execz .LBB7_132
.LBB7_136:                              ;   in Loop: Header=BB7_133 Depth=3
	s_sleep 1
	s_trap 2
	ds_read_b64 v[0:1], v0
	s_waitcnt lgkmcnt(0)
	s_andn2_b64 s[78:79], s[78:79], exec
	v_cmp_ge_u64_e32 vcc, v[0:1], v[15:16]
	s_orn2_b64 s[92:93], vcc, exec
	s_branch .LBB7_132
.LBB7_137:                              ;   in Loop: Header=BB7_53 Depth=2
	v_lshrrev_b32_e32 v2, 11, v46
	v_sub_u32_e32 v47, v2, v14
	v_cmp_lt_i32_e32 vcc, 0, v47
	s_and_saveexec_b64 s[28:29], vcc
	s_cbranch_execz .LBB7_143
; %bb.138:                              ;   in Loop: Header=BB7_53 Depth=2
	ds_read_b64 v[25:26], v44
	v_mov_b32_e32 v28, v20
	v_cmp_lt_u32_e32 vcc, 1, v45
	s_mov_b64 s[74:75], 0
	v_mov_b32_e32 v27, v19
	s_branch .LBB7_140
.LBB7_139:                              ;   in Loop: Header=BB7_140 Depth=3
	s_or_b64 exec, exec, s[76:77]
	v_sub_u32_e32 v47, v47, v12
	v_cmp_gt_i32_e64 s[26:27], 1, v47
	s_or_b64 s[74:75], s[26:27], s[74:75]
	v_add_co_u32_e64 v27, s[26:27], v27, v50
	v_addc_co_u32_e64 v28, s[26:27], v28, v51, s[26:27]
	s_andn2_b64 exec, exec, s[74:75]
	s_cbranch_execz .LBB7_142
.LBB7_140:                              ;   Parent Loop BB7_4 Depth=1
                                        ;     Parent Loop BB7_53 Depth=2
                                        ; =>    This Inner Loop Header: Depth=3
	v_add_co_u32_e64 v2, s[26:27], v0, v27
	v_addc_co_u32_e64 v3, s[26:27], v1, v28, s[26:27]
	global_load_dwordx4 v[6:9], v[2:3], off glc slc
	s_nop 0
	global_load_dwordx4 v[2:5], v[2:3], off offset:1024 glc slc
	s_waitcnt lgkmcnt(0)
	v_add_co_u32_e64 v56, s[26:27], v25, v27
	v_addc_co_u32_e64 v57, s[26:27], v26, v28, s[26:27]
	s_waitcnt vmcnt(0)
	global_store_dwordx4 v[56:57], v[6:9], off glc slc
	s_waitcnt vmcnt(1)
	global_store_dwordx4 v[56:57], v[2:5], off offset:1024 glc slc
	s_and_saveexec_b64 s[76:77], vcc
	s_cbranch_execz .LBB7_139
; %bb.141:                              ;   in Loop: Header=BB7_140 Depth=3
	ds_read_b64 v[56:57], v44 offset:8
	s_waitcnt lgkmcnt(0)
	v_add_co_u32_e64 v56, s[26:27], v27, v56
	v_addc_co_u32_e64 v57, s[26:27], v28, v57, s[26:27]
	global_store_dwordx4 v[56:57], v[6:9], off glc slc
	global_store_dwordx4 v[56:57], v[2:5], off offset:1024 glc slc
	s_branch .LBB7_139
.LBB7_142:                              ;   in Loop: Header=BB7_53 Depth=2
	s_or_b64 exec, exec, s[74:75]
.LBB7_143:                              ;   in Loop: Header=BB7_53 Depth=2
	s_or_b64 exec, exec, s[28:29]
	v_and_b32_e32 v3, 0x7ff, v46
	v_mov_b32_e32 v6, 0
	v_cmp_ne_u32_e32 vcc, 0, v3
	s_mov_b64 s[26:27], 0
                                        ; implicit-def: $vgpr2
                                        ; implicit-def: $vgpr7
                                        ; implicit-def: $vgpr4
	s_and_saveexec_b64 s[74:75], vcc
	s_cbranch_execz .LBB7_176
; %bb.144:                              ;   in Loop: Header=BB7_53 Depth=2
	v_lshlrev_b32_e32 v2, 6, v47
	v_sub_u32_e32 v2, v48, v2
	v_ashrrev_i32_e32 v4, 31, v2
	v_lshrrev_b32_e32 v4, 26, v4
	v_add_u32_e32 v4, v2, v4
	v_ashrrev_i32_e32 v5, 6, v4
	v_and_b32_e32 v4, 0xffffffc0, v4
	v_sub_u32_e32 v8, v2, v4
	v_lshlrev_b32_e32 v2, 4, v8
	v_lshl_add_u32 v2, v5, 10, v2
	v_and_b32_e32 v25, 0x3ff, v46
	v_sub_u32_e32 v26, v3, v2
	v_lshrrev_b32_e32 v3, 10, v3
	v_cmp_lt_u32_e32 vcc, 15, v25
	v_addc_co_u32_e64 v3, s[26:27], 0, v3, vcc
	v_sub_u32_e32 v9, v3, v5
	v_cmp_lt_i32_e64 s[26:27], 15, v26
	s_and_saveexec_b64 s[76:77], s[26:27]
	s_cbranch_execz .LBB7_173
; %bb.145:                              ;   in Loop: Header=BB7_53 Depth=2
	ds_read_b64 v[6:7], v44
	v_and_b32_e32 v3, 0x7ffff800, v46
	v_add_u32_e32 v27, v2, v3
	v_ashrrev_i32_e32 v28, 31, v27
	v_cmp_lt_u32_e64 s[26:27], 1, v45
	s_mov_b64 s[78:79], 0
	s_branch .LBB7_147
.LBB7_146:                              ;   in Loop: Header=BB7_147 Depth=3
	s_or_b64 exec, exec, s[88:89]
	v_sub_u32_e32 v26, v26, v52
	v_cmp_gt_i32_e64 s[28:29], 16, v26
	s_or_b64 s[78:79], s[28:29], s[78:79]
	v_add_co_u32_e64 v27, s[28:29], v27, v52
	v_sub_u32_e32 v9, v9, v12
	v_addc_co_u32_e64 v28, s[28:29], v28, v53, s[28:29]
	s_andn2_b64 exec, exec, s[78:79]
	s_cbranch_execz .LBB7_172
.LBB7_147:                              ;   Parent Loop BB7_4 Depth=1
                                        ;     Parent Loop BB7_53 Depth=2
                                        ; =>    This Inner Loop Header: Depth=3
	v_add_co_u32_e64 v2, s[28:29], v0, v27
	v_addc_co_u32_e64 v3, s[28:29], v1, v28, s[28:29]
	global_load_dwordx4 v[2:5], v[2:3], off glc slc
	s_waitcnt lgkmcnt(0)
	v_add_co_u32_e64 v56, s[28:29], v6, v27
	v_addc_co_u32_e64 v57, s[28:29], v7, v28, s[28:29]
	s_waitcnt vmcnt(0)
	global_store_dwordx4 v[56:57], v[2:5], off glc slc
	s_and_saveexec_b64 s[88:89], s[26:27]
	s_cbranch_execz .LBB7_146
; %bb.148:                              ;   in Loop: Header=BB7_147 Depth=3
	ds_read_b64 v[56:57], v44 offset:8
	s_waitcnt lgkmcnt(0)
	v_add_co_u32_e64 v56, s[28:29], v27, v56
	v_addc_co_u32_e64 v57, s[28:29], v28, v57, s[28:29]
	global_store_dwordx4 v[56:57], v[2:5], off glc slc
	s_branch .LBB7_146
.LBB7_149:                              ;   in Loop: Header=BB7_53 Depth=2
	s_or_b64 exec, exec, s[60:61]
	s_and_saveexec_b64 s[60:61], s[62:63]
	s_xor_b64 s[60:61], exec, s[60:61]
	s_cbranch_execz .LBB7_151
; %bb.150:                              ;   in Loop: Header=BB7_53 Depth=2
	ds_write_b32 v0, v32
	s_trap 2
.LBB7_151:                              ;   in Loop: Header=BB7_53 Depth=2
	s_or_b64 exec, exec, s[28:29]
	;;#ASMSTART
	s_wakeup
	;;#ASMEND
.LBB7_152:                              ;   in Loop: Header=BB7_53 Depth=2
	s_or_b64 exec, exec, s[26:27]
	s_andn2_saveexec_b64 s[24:25], s[24:25]
	s_cbranch_execz .LBB7_60
.LBB7_153:                              ;   in Loop: Header=BB7_53 Depth=2
	s_waitcnt vmcnt(0) lgkmcnt(0)
	buffer_wbinvl1_vol
	s_barrier
	s_or_b64 exec, exec, s[24:25]
	s_and_saveexec_b64 s[24:25], s[16:17]
	s_xor_b64 s[24:25], exec, s[24:25]
	s_cbranch_execz .LBB7_61
.LBB7_154:                              ;   in Loop: Header=BB7_53 Depth=2
	s_and_saveexec_b64 s[26:27], s[56:57]
	s_cbranch_execz .LBB7_171
; %bb.155:                              ;   in Loop: Header=BB7_53 Depth=2
	s_mov_b64 s[60:61], exec
	v_mbcnt_lo_u32_b32 v0, s60, 0
	v_mbcnt_hi_u32_b32 v0, s61, v0
	v_cmp_eq_u32_e32 vcc, 0, v0
	s_waitcnt vmcnt(0) lgkmcnt(0)
	buffer_wbinvl1_vol
	s_and_saveexec_b64 s[28:29], vcc
	s_cbranch_execz .LBB7_157
; %bb.156:                              ;   in Loop: Header=BB7_53 Depth=2
	s_bcnt1_i32_b64 s60, s[60:61]
	v_mov_b32_e32 v0, s60
	v_mov_b32_e32 v1, v10
	ds_add_u64 v0, v[0:1]
	s_trap 2
.LBB7_157:                              ;   in Loop: Header=BB7_53 Depth=2
	s_or_b64 exec, exec, s[28:29]
	s_trap 2
	ds_read_b64 v[0:1], v0
	s_waitcnt lgkmcnt(0)
	v_add_co_u32_e32 v15, vcc, 2, v15
	v_addc_co_u32_e32 v16, vcc, 0, v16, vcc
	v_cmp_lt_u64_e32 vcc, v[0:1], v[15:16]
	s_and_saveexec_b64 s[28:29], vcc
	s_cbranch_execz .LBB7_170
; %bb.158:                              ;   in Loop: Header=BB7_53 Depth=2
	s_mov_b32 s88, 0
	s_mov_b64 s[60:61], 0
                                        ; implicit-def: $sgpr62_sgpr63
                                        ; implicit-def: $sgpr72_sgpr73
	s_branch .LBB7_160
.LBB7_159:                              ;   in Loop: Header=BB7_160 Depth=3
	s_or_b64 exec, exec, s[76:77]
	s_and_b64 s[74:75], exec, s[78:79]
	s_or_b64 s[60:61], s[74:75], s[60:61]
	s_andn2_b64 s[62:63], s[62:63], exec
	s_and_b64 s[74:75], s[72:73], exec
	s_or_b64 s[62:63], s[62:63], s[74:75]
	s_andn2_b64 exec, exec, s[60:61]
	s_cbranch_execz .LBB7_168
.LBB7_160:                              ;   Parent Loop BB7_4 Depth=1
                                        ;     Parent Loop BB7_53 Depth=2
                                        ; =>    This Inner Loop Header: Depth=3
	s_add_i32 s88, s88, 1
	s_cmpk_lg_i32 s88, 0x2710
	s_cselect_b64 s[74:75], -1, 0
	s_and_b64 vcc, exec, s[74:75]
	s_cbranch_vccz .LBB7_162
; %bb.161:                              ;   in Loop: Header=BB7_160 Depth=3
	s_mov_b64 s[78:79], -1
	s_or_b64 s[72:73], s[72:73], exec
	s_and_saveexec_b64 s[76:77], s[74:75]
	s_cbranch_execz .LBB7_159
	s_branch .LBB7_163
.LBB7_162:                              ;   in Loop: Header=BB7_160 Depth=3
	s_trap 2
	ds_read_b64 v[0:1], v0
	s_andn2_b64 s[74:75], s[74:75], exec
	s_mov_b32 s88, 0
	s_waitcnt lgkmcnt(0)
	flat_load_dword v0, v[0:1] glc
	s_waitcnt vmcnt(0) lgkmcnt(0)
	buffer_wbinvl1_vol
	v_cmp_eq_u32_e32 vcc, 0, v0
	s_and_b64 s[76:77], vcc, exec
	s_or_b64 s[74:75], s[74:75], s[76:77]
	s_mov_b64 s[78:79], -1
	s_or_b64 s[72:73], s[72:73], exec
	s_and_saveexec_b64 s[76:77], s[74:75]
	s_cbranch_execz .LBB7_159
.LBB7_163:                              ;   in Loop: Header=BB7_160 Depth=3
	s_sleep 1
	s_trap 2
	ds_read_b64 v[0:1], v0
	s_waitcnt lgkmcnt(0)
	s_andn2_b64 s[72:73], s[72:73], exec
	v_cmp_ge_u64_e32 vcc, v[0:1], v[15:16]
	s_orn2_b64 s[78:79], vcc, exec
	s_branch .LBB7_159
.LBB7_164:                              ;   in Loop: Header=BB7_53 Depth=2
	s_or_b64 exec, exec, s[74:75]
	s_and_saveexec_b64 s[74:75], s[76:77]
	s_xor_b64 s[74:75], exec, s[74:75]
	s_cbranch_execz .LBB7_166
; %bb.165:                              ;   in Loop: Header=BB7_53 Depth=2
	ds_write_b32 v0, v32
	s_trap 2
.LBB7_166:                              ;   in Loop: Header=BB7_53 Depth=2
	s_or_b64 exec, exec, s[28:29]
	;;#ASMSTART
	s_wakeup
	;;#ASMEND
.LBB7_167:                              ;   in Loop: Header=BB7_53 Depth=2
	s_or_b64 exec, exec, s[26:27]
	s_andn2_saveexec_b64 s[24:25], s[24:25]
	s_cbranch_execnz .LBB7_117
	s_branch .LBB7_118
.LBB7_168:                              ;   in Loop: Header=BB7_53 Depth=2
	s_or_b64 exec, exec, s[60:61]
	s_and_saveexec_b64 s[60:61], s[62:63]
	s_xor_b64 s[60:61], exec, s[60:61]
	s_cbranch_execz .LBB7_170
; %bb.169:                              ;   in Loop: Header=BB7_53 Depth=2
	ds_write_b32 v0, v32
	s_trap 2
.LBB7_170:                              ;   in Loop: Header=BB7_53 Depth=2
	s_or_b64 exec, exec, s[28:29]
	;;#ASMSTART
	s_wakeup
	;;#ASMEND
.LBB7_171:                              ;   in Loop: Header=BB7_53 Depth=2
	s_or_b64 exec, exec, s[26:27]
	s_andn2_saveexec_b64 s[24:25], s[24:25]
	s_cbranch_execnz .LBB7_62
	s_branch .LBB7_63
.LBB7_172:                              ;   in Loop: Header=BB7_53 Depth=2
	s_or_b64 exec, exec, s[78:79]
.LBB7_173:                              ;   in Loop: Header=BB7_53 Depth=2
	s_or_b64 exec, exec, s[76:77]
	v_and_b32_e32 v2, 15, v46
	v_cndmask_b32_e32 v2, v25, v2, vcc
	v_mov_b32_e32 v6, 0
	v_cmp_ne_u32_e64 s[26:27], 0, v2
	s_mov_b64 s[28:29], 0
                                        ; implicit-def: $vgpr7
                                        ; implicit-def: $vgpr4
	s_and_saveexec_b64 s[76:77], s[26:27]
	s_cbranch_execz .LBB7_175
; %bb.174:                              ;   in Loop: Header=BB7_53 Depth=2
	v_mov_b32_e32 v3, 0x7ffffc00
	v_mov_b32_e32 v4, 0x7ffffff0
	v_cndmask_b32_e32 v3, v3, v4, vcc
	v_cmp_lt_i32_e32 vcc, 0, v9
	v_and_b32_e32 v6, v3, v46
	v_cndmask_b32_e32 v3, 0, v12, vcc
	v_sub_u32_e32 v3, v3, v9
	v_lshl_add_u32 v7, v3, 6, v8
	v_ashrrev_i32_e32 v3, 31, v7
	v_lshrrev_b32_e32 v3, 26, v3
	v_add_u32_e32 v3, v7, v3
	s_mov_b64 s[28:29], exec
	v_ashrrev_i32_e32 v4, 6, v3
.LBB7_175:                              ;   in Loop: Header=BB7_53 Depth=2
	s_or_b64 exec, exec, s[76:77]
	s_and_b64 s[26:27], s[28:29], exec
.LBB7_176:                              ;   in Loop: Header=BB7_53 Depth=2
	s_or_b64 exec, exec, s[74:75]
	v_mov_b32_e32 v46, v2
	s_and_saveexec_b64 s[28:29], s[26:27]
	s_cbranch_execz .LBB7_189
.LBB7_177:                              ;   in Loop: Header=BB7_53 Depth=2
	v_lshrrev_b32_e32 v2, 9, v46
	v_sub_u32_e32 v8, v2, v4
	v_ashrrev_i32_e32 v2, 31, v7
	v_cmp_lt_i32_e32 vcc, 0, v8
	v_lshrrev_b32_e32 v9, 26, v2
	s_and_saveexec_b64 s[74:75], vcc
	s_cbranch_execz .LBB7_183
; %bb.178:                              ;   in Loop: Header=BB7_53 Depth=2
	v_add_u32_e32 v5, v7, v9
	ds_read_b64 v[2:3], v44
	v_and_b32_e32 v5, 0xffffffc0, v5
	v_sub_u32_e32 v5, v7, v5
	v_lshlrev_b32_e32 v4, 9, v4
	v_add3_u32 v4, v5, v4, v6
	v_ashrrev_i32_e32 v5, 31, v4
	v_add_co_u32_e32 v25, vcc, 0x1c0, v4
	v_cmp_lt_u32_e64 s[26:27], 1, v45
	v_addc_co_u32_e32 v26, vcc, 0, v5, vcc
	s_mov_b64 s[76:77], 0
	s_branch .LBB7_180
.LBB7_179:                              ;   in Loop: Header=BB7_180 Depth=3
	s_or_b64 exec, exec, s[78:79]
	v_sub_u32_e32 v8, v8, v12
	v_cmp_gt_i32_e32 vcc, 1, v8
	s_or_b64 s[76:77], vcc, s[76:77]
	v_add_co_u32_e32 v25, vcc, v25, v54
	v_addc_co_u32_e32 v26, vcc, v26, v55, vcc
	s_andn2_b64 exec, exec, s[76:77]
	s_cbranch_execz .LBB7_182
.LBB7_180:                              ;   Parent Loop BB7_4 Depth=1
                                        ;     Parent Loop BB7_53 Depth=2
                                        ; =>    This Inner Loop Header: Depth=3
	v_add_co_u32_e32 v60, vcc, v0, v25
	v_addc_co_u32_e32 v61, vcc, v1, v26, vcc
	s_waitcnt lgkmcnt(0)
	v_add_co_u32_e32 v4, vcc, v2, v25
	v_addc_co_u32_e32 v5, vcc, v3, v26, vcc
	v_add_co_u32_e32 v27, vcc, 0xfffffe40, v60
	v_addc_co_u32_e32 v28, vcc, -1, v61, vcc
	flat_load_ubyte v27, v[27:28] glc slc
	v_add_co_u32_e32 v56, vcc, 0xfffffe80, v60
	v_addc_co_u32_e32 v57, vcc, -1, v61, vcc
	flat_load_ubyte v28, v[56:57] glc slc
	;; [unrolled: 3-line block ×7, first 2 shown]
	s_nop 0
	flat_load_ubyte v60, v[60:61] glc slc
	v_add_co_u32_e32 v33, vcc, s39, v4
	v_addc_co_u32_e32 v34, vcc, -1, v5, vcc
	s_waitcnt vmcnt(0) lgkmcnt(0)
	flat_store_byte v[33:34], v27 glc slc
	v_add_co_u32_e32 v33, vcc, s48, v4
	v_addc_co_u32_e32 v34, vcc, -1, v5, vcc
	flat_store_byte v[33:34], v28 glc slc
	v_add_co_u32_e32 v33, vcc, s49, v4
	v_addc_co_u32_e32 v34, vcc, -1, v5, vcc
	;; [unrolled: 3-line block ×6, first 2 shown]
	flat_store_byte v[33:34], v59 glc slc
	flat_store_byte v[4:5], v60 glc slc
	s_and_saveexec_b64 s[78:79], s[26:27]
	s_cbranch_execz .LBB7_179
; %bb.181:                              ;   in Loop: Header=BB7_180 Depth=3
	ds_read_b64 v[4:5], v44 offset:8
	s_waitcnt lgkmcnt(0)
	v_add_co_u32_e32 v4, vcc, v25, v4
	v_addc_co_u32_e32 v5, vcc, v26, v5, vcc
	v_add_co_u32_e32 v33, vcc, 0xfffffe40, v4
	v_addc_co_u32_e32 v34, vcc, -1, v5, vcc
	flat_store_byte v[33:34], v27 glc slc
	v_add_co_u32_e32 v33, vcc, 0xfffffe80, v4
	v_addc_co_u32_e32 v34, vcc, -1, v5, vcc
	v_add_co_u32_e32 v27, vcc, 0xfffffec0, v4
	flat_store_byte v[33:34], v28 glc slc
	v_addc_co_u32_e32 v28, vcc, -1, v5, vcc
	flat_store_byte v[27:28], v47 glc slc
	v_add_co_u32_e32 v27, vcc, 0xffffff00, v4
	v_addc_co_u32_e32 v28, vcc, -1, v5, vcc
	flat_store_byte v[27:28], v56 glc slc
	v_add_co_u32_e32 v27, vcc, 0xffffff40, v4
	v_addc_co_u32_e32 v28, vcc, -1, v5, vcc
	flat_store_byte v[27:28], v57 glc slc
	v_add_co_u32_e32 v27, vcc, 0xffffff80, v4
	v_addc_co_u32_e32 v28, vcc, -1, v5, vcc
	flat_store_byte v[27:28], v58 glc slc
	v_add_co_u32_e32 v27, vcc, 0xffffffc0, v4
	v_addc_co_u32_e32 v28, vcc, -1, v5, vcc
	flat_store_byte v[27:28], v59 glc slc
	flat_store_byte v[4:5], v60 glc slc
	s_branch .LBB7_179
.LBB7_182:                              ;   in Loop: Header=BB7_53 Depth=2
	s_or_b64 exec, exec, s[76:77]
.LBB7_183:                              ;   in Loop: Header=BB7_53 Depth=2
	s_or_b64 exec, exec, s[74:75]
	v_and_b32_e32 v5, 0xfffffe00, v46
	v_cmp_ne_u32_e32 vcc, v46, v5
	s_and_b64 exec, exec, vcc
	s_cbranch_execz .LBB7_189
; %bb.184:                              ;   in Loop: Header=BB7_53 Depth=2
	v_add_u32_e32 v0, v7, v9
	v_and_b32_e32 v0, 0xffffffc0, v0
	v_sub_u32_e32 v0, v7, v0
	v_lshlrev_b32_e32 v1, 6, v8
	v_sub_u32_e32 v7, v0, v1
	v_and_b32_e32 v0, 0x1ff, v46
	v_sub_u32_e32 v4, v0, v7
	v_cmp_lt_i32_e32 vcc, 0, v4
	s_and_b64 exec, exec, vcc
	s_cbranch_execz .LBB7_189
; %bb.185:                              ;   in Loop: Header=BB7_53 Depth=2
	v_mov_b32_e32 v0, 0x310
	v_mov_b32_e32 v1, 0x318
	v_cndmask_b32_e64 v0, v0, v1, s[24:25]
	v_add_u32_e32 v0, v0, v0
	ds_read_b64 v[0:1], v0
	v_add3_u32 v5, v5, v6, v7
	v_ashrrev_i32_e32 v6, 31, v5
	v_cmp_lt_u32_e32 vcc, 1, v45
	s_mov_b64 s[26:27], 0
	s_waitcnt lgkmcnt(0)
	ds_read_b64 v[2:3], v0 offset:720
	s_branch .LBB7_187
.LBB7_186:                              ;   in Loop: Header=BB7_187 Depth=3
	s_or_b64 exec, exec, s[74:75]
	v_sub_u32_e32 v4, v4, v36
	v_cmp_gt_i32_e64 s[24:25], 1, v4
	s_or_b64 s[26:27], s[24:25], s[26:27]
	v_add_co_u32_e64 v5, s[24:25], v5, v36
	v_addc_co_u32_e64 v6, s[24:25], v6, v40, s[24:25]
	s_andn2_b64 exec, exec, s[26:27]
	s_cbranch_execz .LBB7_189
.LBB7_187:                              ;   Parent Loop BB7_4 Depth=1
                                        ;     Parent Loop BB7_53 Depth=2
                                        ; =>    This Inner Loop Header: Depth=3
	s_waitcnt lgkmcnt(0)
	v_add_co_u32_e64 v7, s[24:25], v2, v5
	v_addc_co_u32_e64 v8, s[24:25], v3, v6, s[24:25]
	flat_load_ubyte v7, v[7:8] glc slc
	v_add_co_u32_e64 v8, s[24:25], v0, v5
	v_addc_co_u32_e64 v9, s[24:25], v1, v6, s[24:25]
	s_waitcnt vmcnt(0) lgkmcnt(0)
	flat_store_byte v[8:9], v7 glc slc
	s_and_saveexec_b64 s[74:75], vcc
	s_cbranch_execz .LBB7_186
; %bb.188:                              ;   in Loop: Header=BB7_187 Depth=3
	ds_read_b64 v[8:9], v44 offset:8
	s_waitcnt lgkmcnt(0)
	v_add_co_u32_e64 v8, s[24:25], v5, v8
	v_addc_co_u32_e64 v9, s[24:25], v6, v9, s[24:25]
	flat_store_byte v[8:9], v7 glc slc
	s_branch .LBB7_186
.LBB7_189:                              ;   in Loop: Header=BB7_53 Depth=2
	s_or_b64 exec, exec, s[28:29]
	v_cmp_ne_u32_e32 vcc, 0, v22
	v_and_b32_e32 v0, 16, v35
	s_and_b64 s[24:25], vcc, s[72:73]
	v_cmp_ne_u32_e32 vcc, 0, v0
	s_and_b64 s[24:25], s[24:25], vcc
	s_and_saveexec_b64 s[26:27], s[24:25]
	s_cbranch_execz .LBB7_193
; %bb.190:                              ;   in Loop: Header=BB7_53 Depth=2
	ds_read_b64 v[0:1], v42 offset:16
	s_waitcnt lgkmcnt(0)
	v_cmp_ne_u64_e32 vcc, 0, v[0:1]
	s_and_saveexec_b64 s[28:29], vcc
	s_cbranch_execz .LBB7_192
; %bb.191:                              ;   in Loop: Header=BB7_53 Depth=2
	ds_read_b32 v2, v0 offset:12
	v_and_b32_e32 v3, 7, v17
	v_mad_u64_u32 v[0:1], s[72:73], v3, 24, v[0:1]
	s_waitcnt lgkmcnt(0)
	v_add_u32_e32 v2, v2, v43
	v_ashrrev_i32_e32 v3, 31, v2
	flat_store_dwordx2 v[0:1], v[2:3] offset:8
.LBB7_192:                              ;   in Loop: Header=BB7_53 Depth=2
	s_or_b64 exec, exec, s[28:29]
	ds_read_b64 v[0:1], v42 offset:8
	v_add_co_u32_e32 v17, vcc, 1, v17
	v_addc_co_u32_e32 v18, vcc, 0, v18, vcc
	ds_write_b64 v42, v[17:18]
	s_waitcnt lgkmcnt(0)
	flat_store_dwordx2 v[0:1], v[17:18] offset:104 glc slc
.LBB7_193:                              ;   in Loop: Header=BB7_53 Depth=2
	s_or_b64 exec, exec, s[26:27]
	v_cmp_ne_u32_e32 vcc, 0, v21
	v_and_b32_e32 v0, 32, v35
	s_and_b64 s[26:27], s[62:63], vcc
	v_cmp_ne_u32_e32 vcc, 0, v0
	s_and_b64 s[26:27], s[26:27], vcc
	s_and_saveexec_b64 s[28:29], s[26:27]
	s_cbranch_execz .LBB7_195
; %bb.194:                              ;   in Loop: Header=BB7_53 Depth=2
	ds_read_b64 v[0:1], v42 offset:8
	v_add_co_u32_e32 v17, vcc, 1, v17
	v_addc_co_u32_e32 v18, vcc, 0, v18, vcc
	ds_write_b64 v42, v[17:18]
	s_waitcnt lgkmcnt(0)
	flat_store_dwordx2 v[0:1], v[17:18] offset:104 glc slc
.LBB7_195:                              ;   in Loop: Header=BB7_53 Depth=2
	s_or_b64 exec, exec, s[28:29]
	ds_read_b32 v0, v0
	s_waitcnt lgkmcnt(0)
	v_cmp_lt_i32_e32 vcc, -1, v0
	s_and_saveexec_b64 s[28:29], vcc
	s_xor_b64 s[28:29], exec, s[28:29]
	s_cbranch_execnz .LBB7_204
; %bb.196:                              ;   in Loop: Header=BB7_53 Depth=2
	s_andn2_saveexec_b64 s[28:29], s[28:29]
	s_cbranch_execnz .LBB7_207
.LBB7_197:                              ;   in Loop: Header=BB7_53 Depth=2
	s_or_b64 exec, exec, s[28:29]
	s_and_saveexec_b64 s[22:23], s[16:17]
	s_xor_b64 s[22:23], exec, s[22:23]
	s_cbranch_execnz .LBB7_213
.LBB7_198:                              ;   in Loop: Header=BB7_53 Depth=2
	s_andn2_saveexec_b64 s[22:23], s[22:23]
	s_cbranch_execnz .LBB7_227
.LBB7_199:                              ;   in Loop: Header=BB7_53 Depth=2
	s_or_b64 exec, exec, s[22:23]
	s_and_saveexec_b64 s[22:23], s[24:25]
	s_cbranch_execnz .LBB7_228
.LBB7_200:                              ;   in Loop: Header=BB7_53 Depth=2
	s_or_b64 exec, exec, s[22:23]
	s_and_saveexec_b64 s[22:23], s[26:27]
	s_cbranch_execz .LBB7_202
.LBB7_201:                              ;   in Loop: Header=BB7_53 Depth=2
	ds_read_b64 v[0:1], v42 offset:32
	s_waitcnt lgkmcnt(0)
	flat_store_dwordx2 v[0:1], v[17:18] glc slc
.LBB7_202:                              ;   in Loop: Header=BB7_53 Depth=2
	s_or_b64 exec, exec, s[22:23]
	s_or_b64 exec, exec, s[60:61]
	s_and_saveexec_b64 s[22:23], s[20:21]
	s_cbranch_execz .LBB7_52
.LBB7_203:                              ;   in Loop: Header=BB7_53 Depth=2
	s_waitcnt lgkmcnt(0)
	ds_write_b32 v0, v10 offset:36
	s_branch .LBB7_52
.LBB7_204:                              ;   in Loop: Header=BB7_53 Depth=2
	v_and_b32_e32 v0, 4, v35
	v_cmp_ne_u32_e32 vcc, 0, v0
	s_and_saveexec_b64 s[62:63], vcc
	s_cbranch_execz .LBB7_206
; %bb.205:                              ;   in Loop: Header=BB7_53 Depth=2
	ds_read2_b32 v[0:1], v0 offset0:2 offset1:4
	ds_read_b32 v4, v42 offset:64
	s_waitcnt lgkmcnt(0)
	v_add_u32_e32 v2, v0, v43
	v_ashrrev_i32_e32 v0, 31, v1
	v_add_co_u32_e32 v1, vcc, v17, v1
	v_ashrrev_i32_e32 v3, 31, v2
	v_addc_co_u32_e32 v5, vcc, v18, v0, vcc
	v_ashrrev_i32_e32 v0, 31, v4
	v_mul_lo_u32 v6, v1, v0
	v_mad_u64_u32 v[0:1], s[72:73], v1, v4, v[2:3]
	v_mul_lo_u32 v2, v5, v4
	v_add3_u32 v1, v2, v1, v6
	ds_max_i64 v42, v[0:1] offset:56
.LBB7_206:                              ;   in Loop: Header=BB7_53 Depth=2
	s_or_b64 exec, exec, s[62:63]
                                        ; implicit-def: $vgpr23_vgpr24
	s_andn2_saveexec_b64 s[28:29], s[28:29]
	s_cbranch_execz .LBB7_197
.LBB7_207:                              ;   in Loop: Header=BB7_53 Depth=2
	s_and_saveexec_b64 s[62:63], s[22:23]
	s_cbranch_execz .LBB7_212
; %bb.208:                              ;   in Loop: Header=BB7_53 Depth=2
	s_mov_b64 s[72:73], exec
	s_mov_b64 s[22:23], s[40:41]
.LBB7_209:                              ;   Parent Loop BB7_4 Depth=1
                                        ;     Parent Loop BB7_53 Depth=2
                                        ; =>    This Inner Loop Header: Depth=3
	s_ff1_i32_b64 s76, s[72:73]
	v_readlane_b32 s77, v24, s76
	v_readlane_b32 s78, v23, s76
	v_mov_b32_e32 v0, s78
	v_mov_b32_e32 v1, s77
	v_cmp_gt_i64_e32 vcc, s[22:23], v[0:1]
	s_and_b64 s[74:75], vcc, exec
	s_cselect_b32 s23, s23, s77
	s_cselect_b32 s22, s22, s78
	s_lshl_b64 s[74:75], 1, s76
	s_andn2_b64 s[72:73], s[72:73], s[74:75]
	s_cmp_lg_u64 s[72:73], 0
	s_cbranch_scc1 .LBB7_209
; %bb.210:                              ;   in Loop: Header=BB7_53 Depth=2
	v_mbcnt_lo_u32_b32 v0, exec_lo, 0
	v_mbcnt_hi_u32_b32 v0, exec_hi, v0
	v_cmp_eq_u32_e32 vcc, 0, v0
	s_and_saveexec_b64 s[72:73], vcc
	s_xor_b64 s[72:73], exec, s[72:73]
	s_cbranch_execz .LBB7_212
; %bb.211:                              ;   in Loop: Header=BB7_53 Depth=2
	v_mov_b32_e32 v0, s22
	v_mov_b32_e32 v1, s23
	ds_max_i64 v0, v[0:1]
	s_trap 2
.LBB7_212:                              ;   in Loop: Header=BB7_53 Depth=2
	s_or_b64 exec, exec, s[62:63]
	s_or_b64 exec, exec, s[28:29]
	s_and_saveexec_b64 s[22:23], s[16:17]
	s_xor_b64 s[22:23], exec, s[22:23]
	s_cbranch_execz .LBB7_198
.LBB7_213:                              ;   in Loop: Header=BB7_53 Depth=2
	s_and_saveexec_b64 s[28:29], s[56:57]
	s_cbranch_execz .LBB7_226
; %bb.214:                              ;   in Loop: Header=BB7_53 Depth=2
	s_mov_b64 s[72:73], exec
	v_mbcnt_lo_u32_b32 v0, s72, 0
	v_mbcnt_hi_u32_b32 v0, s73, v0
	v_cmp_eq_u32_e32 vcc, 0, v0
	s_waitcnt vmcnt(0) lgkmcnt(0)
	buffer_wbinvl1_vol
	s_and_saveexec_b64 s[62:63], vcc
	s_cbranch_execz .LBB7_216
; %bb.215:                              ;   in Loop: Header=BB7_53 Depth=2
	s_bcnt1_i32_b64 s72, s[72:73]
	v_mov_b32_e32 v0, s72
	v_mov_b32_e32 v1, v10
	ds_add_u64 v0, v[0:1]
	s_trap 2
.LBB7_216:                              ;   in Loop: Header=BB7_53 Depth=2
	s_or_b64 exec, exec, s[62:63]
	s_trap 2
	ds_read_b64 v[0:1], v0
	s_waitcnt lgkmcnt(0)
	v_add_co_u32_e32 v15, vcc, 2, v15
	v_addc_co_u32_e32 v16, vcc, 0, v16, vcc
	v_cmp_lt_u64_e32 vcc, v[0:1], v[15:16]
	s_and_saveexec_b64 s[62:63], vcc
	s_cbranch_execz .LBB7_225
; %bb.217:                              ;   in Loop: Header=BB7_53 Depth=2
	s_mov_b32 s92, 0
	s_mov_b64 s[72:73], 0
                                        ; implicit-def: $sgpr74_sgpr75
                                        ; implicit-def: $sgpr76_sgpr77
	s_branch .LBB7_219
.LBB7_218:                              ;   in Loop: Header=BB7_219 Depth=3
	s_or_b64 exec, exec, s[88:89]
	s_and_b64 s[78:79], exec, s[90:91]
	s_or_b64 s[72:73], s[78:79], s[72:73]
	s_andn2_b64 s[74:75], s[74:75], exec
	s_and_b64 s[78:79], s[76:77], exec
	s_or_b64 s[74:75], s[74:75], s[78:79]
	s_andn2_b64 exec, exec, s[72:73]
	s_cbranch_execz .LBB7_223
.LBB7_219:                              ;   Parent Loop BB7_4 Depth=1
                                        ;     Parent Loop BB7_53 Depth=2
                                        ; =>    This Inner Loop Header: Depth=3
	s_add_i32 s92, s92, 1
	s_cmpk_lg_i32 s92, 0x2710
	s_cselect_b64 s[78:79], -1, 0
	s_and_b64 vcc, exec, s[78:79]
	s_cbranch_vccz .LBB7_221
; %bb.220:                              ;   in Loop: Header=BB7_219 Depth=3
	s_mov_b64 s[90:91], -1
	s_or_b64 s[76:77], s[76:77], exec
	s_and_saveexec_b64 s[88:89], s[78:79]
	s_cbranch_execz .LBB7_218
	s_branch .LBB7_222
.LBB7_221:                              ;   in Loop: Header=BB7_219 Depth=3
	s_trap 2
	ds_read_b64 v[0:1], v0
	s_andn2_b64 s[78:79], s[78:79], exec
	s_mov_b32 s92, 0
	s_waitcnt lgkmcnt(0)
	flat_load_dword v0, v[0:1] glc
	s_waitcnt vmcnt(0) lgkmcnt(0)
	buffer_wbinvl1_vol
	v_cmp_eq_u32_e32 vcc, 0, v0
	s_and_b64 s[88:89], vcc, exec
	s_or_b64 s[78:79], s[78:79], s[88:89]
	s_mov_b64 s[90:91], -1
	s_or_b64 s[76:77], s[76:77], exec
	s_and_saveexec_b64 s[88:89], s[78:79]
	s_cbranch_execz .LBB7_218
.LBB7_222:                              ;   in Loop: Header=BB7_219 Depth=3
	s_sleep 1
	s_trap 2
	ds_read_b64 v[0:1], v0
	s_waitcnt lgkmcnt(0)
	s_andn2_b64 s[76:77], s[76:77], exec
	v_cmp_ge_u64_e32 vcc, v[0:1], v[15:16]
	s_orn2_b64 s[90:91], vcc, exec
	s_branch .LBB7_218
.LBB7_223:                              ;   in Loop: Header=BB7_53 Depth=2
	s_or_b64 exec, exec, s[72:73]
	s_and_saveexec_b64 s[72:73], s[74:75]
	s_xor_b64 s[72:73], exec, s[72:73]
	s_cbranch_execz .LBB7_225
; %bb.224:                              ;   in Loop: Header=BB7_53 Depth=2
	ds_write_b32 v0, v32
	s_trap 2
.LBB7_225:                              ;   in Loop: Header=BB7_53 Depth=2
	s_or_b64 exec, exec, s[62:63]
	;;#ASMSTART
	s_wakeup
	;;#ASMEND
.LBB7_226:                              ;   in Loop: Header=BB7_53 Depth=2
	s_or_b64 exec, exec, s[28:29]
	s_andn2_saveexec_b64 s[22:23], s[22:23]
	s_cbranch_execz .LBB7_199
.LBB7_227:                              ;   in Loop: Header=BB7_53 Depth=2
	s_waitcnt vmcnt(0) lgkmcnt(0)
	buffer_wbinvl1_vol
	s_barrier
	s_or_b64 exec, exec, s[22:23]
	s_and_saveexec_b64 s[22:23], s[24:25]
	s_cbranch_execz .LBB7_200
.LBB7_228:                              ;   in Loop: Header=BB7_53 Depth=2
	ds_read_b64 v[0:1], v42 offset:40
	s_waitcnt lgkmcnt(0)
	flat_store_dwordx2 v[0:1], v[17:18] glc slc
	s_or_b64 exec, exec, s[22:23]
	s_and_saveexec_b64 s[22:23], s[26:27]
	s_cbranch_execnz .LBB7_201
	s_branch .LBB7_202
.LBB7_229:                              ;   in Loop: Header=BB7_4 Depth=1
	s_or_b64 exec, exec, s[58:59]
	v_and_b32_e32 v0, 0x800, v35
	v_cmp_eq_u32_e32 vcc, 0, v0
	s_and_b64 exec, exec, vcc
	s_cbranch_execz .LBB7_258
; %bb.230:                              ;   in Loop: Header=BB7_4 Depth=1
	v_and_b32_e32 v0, 48, v35
	v_cmp_ne_u32_e32 vcc, 0, v0
	s_and_saveexec_b64 s[18:19], vcc
	s_cbranch_execz .LBB7_232
; %bb.231:                              ;   in Loop: Header=BB7_4 Depth=1
	v_mov_b32_e32 v0, 0x68
	v_mov_b32_e32 v1, 0
	flat_store_dwordx2 v[0:1], v[17:18]
.LBB7_232:                              ;   in Loop: Header=BB7_4 Depth=1
	s_or_b64 exec, exec, s[18:19]
	v_and_b32_e32 v0, 0x88, v35
	v_cmp_eq_u32_e32 vcc, s50, v0
	s_and_saveexec_b64 s[20:21], vcc
	s_cbranch_execz .LBB7_242
; %bb.233:                              ;   in Loop: Header=BB7_4 Depth=1
	v_add_u32_e32 v0, -1, v17
	v_and_b32_e32 v0, 7, v0
	v_mul_hi_u32_u24_e32 v1, 24, v0
	v_mul_u32_u24_e32 v0, 24, v0
	flat_load_dwordx2 v[2:3], v[0:1] offset:8 glc
	s_waitcnt vmcnt(0) lgkmcnt(0)
	v_cmp_ne_u64_e32 vcc, -1, v[2:3]
	v_and_b32_e32 v2, 64, v35
	v_cmp_eq_u32_e64 s[18:19], 0, v2
	s_and_b64 s[18:19], s[18:19], vcc
	s_and_b64 exec, exec, s[18:19]
	s_cbranch_execz .LBB7_242
; %bb.234:                              ;   in Loop: Header=BB7_4 Depth=1
	s_mov_b32 s60, 0
	s_mov_b64 s[18:19], 0
                                        ; implicit-def: $sgpr22_sgpr23
                                        ; implicit-def: $sgpr24_sgpr25
	s_branch .LBB7_236
.LBB7_235:                              ;   in Loop: Header=BB7_236 Depth=2
	s_or_b64 exec, exec, s[58:59]
	s_and_b64 s[26:27], exec, s[28:29]
	s_or_b64 s[18:19], s[26:27], s[18:19]
	s_andn2_b64 s[22:23], s[22:23], exec
	s_and_b64 s[26:27], s[24:25], exec
	s_or_b64 s[22:23], s[22:23], s[26:27]
	s_andn2_b64 exec, exec, s[18:19]
	s_cbranch_execz .LBB7_240
.LBB7_236:                              ;   Parent Loop BB7_4 Depth=1
                                        ; =>  This Inner Loop Header: Depth=2
	s_cmpk_lt_i32 s60, 0x270f
	s_cselect_b64 s[26:27], -1, 0
	s_and_b64 vcc, exec, s[26:27]
	s_cbranch_vccnz .LBB7_238
; %bb.237:                              ;   in Loop: Header=BB7_236 Depth=2
	s_trap 2
	ds_read_b64 v[2:3], v0
	s_andn2_b64 s[26:27], s[26:27], exec
	s_mov_b32 s60, 0
	s_waitcnt lgkmcnt(0)
	flat_load_dword v2, v[2:3] glc
	s_waitcnt vmcnt(0) lgkmcnt(0)
	buffer_wbinvl1_vol
	v_cmp_eq_u32_e32 vcc, 0, v2
	s_and_b64 s[28:29], vcc, exec
	s_or_b64 s[26:27], s[26:27], s[28:29]
	s_mov_b64 s[28:29], -1
	s_or_b64 s[24:25], s[24:25], exec
	s_and_saveexec_b64 s[58:59], s[26:27]
	s_cbranch_execz .LBB7_235
	s_branch .LBB7_239
.LBB7_238:                              ;   in Loop: Header=BB7_236 Depth=2
	s_add_i32 s60, s60, 1
                                        ; implicit-def: $vgpr2
	s_mov_b64 s[28:29], -1
	s_or_b64 s[24:25], s[24:25], exec
	s_and_saveexec_b64 s[58:59], s[26:27]
	s_cbranch_execz .LBB7_235
.LBB7_239:                              ;   in Loop: Header=BB7_236 Depth=2
	flat_load_dwordx2 v[3:4], v[0:1] offset:8 glc
	s_waitcnt vmcnt(0)
	s_andn2_b64 s[24:25], s[24:25], exec
	s_waitcnt lgkmcnt(0)
	v_cmp_eq_u64_e32 vcc, -1, v[3:4]
	s_orn2_b64 s[28:29], vcc, exec
	s_branch .LBB7_235
.LBB7_240:                              ;   in Loop: Header=BB7_4 Depth=1
	s_or_b64 exec, exec, s[18:19]
	s_and_saveexec_b64 s[18:19], s[22:23]
	s_xor_b64 s[18:19], exec, s[18:19]
	s_cbranch_execz .LBB7_242
; %bb.241:                              ;   in Loop: Header=BB7_4 Depth=1
	ds_write_b32 v0, v2
	s_trap 2
.LBB7_242:                              ;   in Loop: Header=BB7_4 Depth=1
	s_or_b64 exec, exec, s[20:21]
	v_cmp_ne_u32_e32 vcc, 1, v12
	s_and_b64 exec, exec, vcc
	s_cbranch_execz .LBB7_258
; %bb.243:                              ;   in Loop: Header=BB7_4 Depth=1
	s_and_saveexec_b64 s[18:19], s[16:17]
	s_xor_b64 s[16:17], exec, s[18:19]
	s_cbranch_execz .LBB7_256
; %bb.244:                              ;   in Loop: Header=BB7_4 Depth=1
	s_and_saveexec_b64 s[18:19], s[56:57]
	s_cbranch_execz .LBB7_255
; %bb.245:                              ;   in Loop: Header=BB7_4 Depth=1
	v_mov_b32_e32 v0, 1
	v_mov_b32_e32 v1, 0
	s_waitcnt vmcnt(0) lgkmcnt(0)
	buffer_wbinvl1_vol
	ds_add_u64 v0, v[0:1] offset:856
	ds_read_b64 v[0:1], v0 offset:856
	s_waitcnt lgkmcnt(0)
	v_ashrrev_i32_e32 v13, 31, v12
	v_cmp_lt_u64_e32 vcc, v[0:1], v[12:13]
	s_and_saveexec_b64 s[20:21], vcc
	s_cbranch_execz .LBB7_254
; %bb.246:                              ;   in Loop: Header=BB7_4 Depth=1
	s_mov_b32 s60, 0
	s_mov_b64 s[22:23], 0
                                        ; implicit-def: $sgpr24_sgpr25
                                        ; implicit-def: $sgpr26_sgpr27
	s_branch .LBB7_248
.LBB7_247:                              ;   in Loop: Header=BB7_248 Depth=2
	s_or_b64 exec, exec, s[58:59]
	s_and_b64 s[28:29], exec, s[56:57]
	s_or_b64 s[22:23], s[28:29], s[22:23]
	s_andn2_b64 s[24:25], s[24:25], exec
	s_and_b64 s[28:29], s[26:27], exec
	s_or_b64 s[24:25], s[24:25], s[28:29]
	s_andn2_b64 exec, exec, s[22:23]
	s_cbranch_execz .LBB7_252
.LBB7_248:                              ;   Parent Loop BB7_4 Depth=1
                                        ; =>  This Inner Loop Header: Depth=2
	s_add_i32 s60, s60, 1
	s_cmpk_lg_i32 s60, 0x2710
	s_cselect_b64 s[28:29], -1, 0
	s_and_b64 vcc, exec, s[28:29]
	s_cbranch_vccz .LBB7_250
; %bb.249:                              ;   in Loop: Header=BB7_248 Depth=2
	s_mov_b64 s[56:57], -1
	s_or_b64 s[26:27], s[26:27], exec
	s_and_saveexec_b64 s[58:59], s[28:29]
	s_cbranch_execz .LBB7_247
	s_branch .LBB7_251
.LBB7_250:                              ;   in Loop: Header=BB7_248 Depth=2
	s_trap 2
	ds_read_b64 v[0:1], v0
	s_andn2_b64 s[28:29], s[28:29], exec
	s_mov_b32 s60, 0
	s_waitcnt lgkmcnt(0)
	flat_load_dword v0, v[0:1] glc
	s_waitcnt vmcnt(0) lgkmcnt(0)
	buffer_wbinvl1_vol
	v_cmp_eq_u32_e32 vcc, 0, v0
	s_and_b64 s[56:57], vcc, exec
	s_or_b64 s[28:29], s[28:29], s[56:57]
	s_mov_b64 s[56:57], -1
	s_or_b64 s[26:27], s[26:27], exec
	s_and_saveexec_b64 s[58:59], s[28:29]
	s_cbranch_execz .LBB7_247
.LBB7_251:                              ;   in Loop: Header=BB7_248 Depth=2
	s_sleep 1
	ds_read_b64 v[0:1], v0 offset:856
	s_waitcnt lgkmcnt(0)
	s_andn2_b64 s[26:27], s[26:27], exec
	v_cmp_ge_u64_e32 vcc, v[0:1], v[12:13]
	s_orn2_b64 s[56:57], vcc, exec
	s_branch .LBB7_247
.LBB7_252:                              ;   in Loop: Header=BB7_4 Depth=1
	s_or_b64 exec, exec, s[22:23]
	s_and_saveexec_b64 s[22:23], s[24:25]
	s_xor_b64 s[22:23], exec, s[22:23]
	s_cbranch_execz .LBB7_254
; %bb.253:                              ;   in Loop: Header=BB7_4 Depth=1
	ds_write_b32 v0, v32
	s_trap 2
.LBB7_254:                              ;   in Loop: Header=BB7_4 Depth=1
	s_or_b64 exec, exec, s[20:21]
	;;#ASMSTART
	s_wakeup
	;;#ASMEND
.LBB7_255:                              ;   in Loop: Header=BB7_4 Depth=1
	s_or_b64 exec, exec, s[18:19]
.LBB7_256:                              ;   in Loop: Header=BB7_4 Depth=1
	s_andn2_saveexec_b64 s[16:17], s[16:17]
	s_cbranch_execz .LBB7_258
; %bb.257:                              ;   in Loop: Header=BB7_4 Depth=1
	s_waitcnt vmcnt(0) lgkmcnt(0)
	buffer_wbinvl1_vol
	s_barrier
.LBB7_258:                              ;   in Loop: Header=BB7_4 Depth=1
	s_or_b64 exec, exec, s[46:47]
                                        ; implicit-def: $vgpr2_vgpr3
                                        ; implicit-def: $vgpr6
                                        ; implicit-def: $vgpr4_vgpr5
                                        ; implicit-def: $vgpr12_vgpr13
                                        ; implicit-def: $vgpr8_vgpr9
.LBB7_259:                              ;   in Loop: Header=BB7_4 Depth=1
	s_andn2_saveexec_b64 s[16:17], s[44:45]
	s_cbranch_execz .LBB7_3
; %bb.260:                              ;   in Loop: Header=BB7_4 Depth=1
	v_add_co_u32_e32 v1, vcc, v6, v4
	v_addc_co_u32_e32 v4, vcc, v7, v5, vcc
	v_add_co_u32_e32 v5, vcc, v8, v2
	v_and_b32_e32 v0, 0x3ffffe00, v12
	v_addc_co_u32_e32 v6, vcc, v9, v3, vcc
	buffer_store_dword v9, off, s[0:3], s32 offset:68
	buffer_store_dword v8, off, s[0:3], s32 offset:64
	;; [unrolled: 1-line block ×7, first 2 shown]
	v_mov_b32_e32 v1, s54
	buffer_store_dword v1, off, s[0:3], s32 offset:96
	v_mov_b32_e32 v1, s53
	buffer_store_dword v1, off, s[0:3], s32 offset:100
	buffer_store_dword v62, off, s[0:3], s32 offset:116
	v_sub_u32_e64 v1, s53, 1 clamp
	v_readfirstlane_b32 s16, v1
	s_flbit_i32_b32 s16, s16
	s_sub_i32 s16, 32, s16
	s_lshl_b32 s16, 1, s16
	s_cmp_gt_u32 s53, 1
	s_cselect_b32 s22, s16, 1
	s_lshr_b32 s16, s53, 31
	v_mov_b32_e32 v1, s22
	s_add_i32 s53, s53, s16
	buffer_store_dword v1, off, s[0:3], s32 offset:104
	buffer_store_dword v1, off, s[0:3], s32 offset:132
	;; [unrolled: 1-line block ×3, first 2 shown]
	v_mov_b32_e32 v1, v10
	s_ashr_i32 s21, s53, 1
	s_mov_b32 s23, 1
	s_branch .LBB7_262
.LBB7_261:                              ;   in Loop: Header=BB7_262 Depth=2
	s_andn2_b64 vcc, exec, s[18:19]
	s_cbranch_vccz .LBB7_266
.LBB7_262:                              ;   Parent Loop BB7_4 Depth=1
                                        ; =>  This Inner Loop Header: Depth=2
	s_mov_b32 s24, s23
	s_ashr_i32 s16, s23, 31
	v_mul_hi_u32 v5, v2, s24
	v_mul_lo_u32 v6, v2, s16
	v_mul_lo_u32 v7, v3, s24
	;; [unrolled: 1-line block ×3, first 2 shown]
	s_mov_b32 s20, s22
	v_add_u32_e32 v5, v5, v6
	v_add_u32_e32 v5, v5, v7
	v_cmp_lt_u64_e32 vcc, v[0:1], v[4:5]
	v_mov_b32_e32 v5, 0
	v_mov_b32_e32 v6, 0
	s_cbranch_vccnz .LBB7_264
; %bb.263:                              ;   in Loop: Header=BB7_262 Depth=2
	v_cvt_f32_u32_e32 v5, v4
	v_sub_u32_e32 v6, 0, v4
	v_rcp_iflag_f32_e32 v5, v5
	v_mul_f32_e32 v5, 0x4f7ffffe, v5
	v_cvt_u32_f32_e32 v5, v5
	v_mul_lo_u32 v6, v6, v5
	v_mul_hi_u32 v6, v5, v6
	v_add_u32_e32 v5, v5, v6
	v_mul_hi_u32 v5, v0, v5
	v_mul_lo_u32 v6, v5, v4
	v_add_u32_e32 v7, 1, v5
	v_sub_u32_e32 v6, v0, v6
	v_sub_u32_e32 v8, v6, v4
	v_cmp_ge_u32_e32 vcc, v6, v4
	v_cndmask_b32_e32 v6, v6, v8, vcc
	v_cndmask_b32_e32 v5, v5, v7, vcc
	v_add_u32_e32 v7, 1, v5
	v_cmp_ge_u32_e32 vcc, v6, v4
	v_cndmask_b32_e32 v5, v5, v7, vcc
	v_mov_b32_e32 v6, v10
.LBB7_264:                              ;   in Loop: Header=BB7_262 Depth=2
	s_cmp_lt_i32 s24, s21
	v_cmp_gt_u64_e32 vcc, 2, v[5:6]
	s_cselect_b64 s[16:17], -1, 0
	s_cmp_ge_i32 s24, s21
	s_cselect_b64 s[22:23], -1, 0
	s_or_b64 s[22:23], s[22:23], vcc
	s_mov_b64 s[18:19], -1
	s_and_b64 vcc, exec, s[22:23]
                                        ; implicit-def: $sgpr23
                                        ; implicit-def: $sgpr22
	s_cbranch_vccnz .LBB7_261
; %bb.265:                              ;   in Loop: Header=BB7_262 Depth=2
	s_lshr_b32 s18, s20, 31
	s_lshl_b32 s23, s24, 1
	s_add_i32 s18, s20, s18
	v_mov_b32_e32 v4, s23
	s_ashr_i32 s22, s18, 1
	buffer_store_dword v4, off, s[0:3], s32 offset:120
	v_mov_b32_e32 v4, s22
	s_mov_b64 s[18:19], 0
	buffer_store_dword v4, off, s[0:3], s32 offset:132
	s_branch .LBB7_261
.LBB7_266:                              ;   in Loop: Header=BB7_4 Depth=1
	v_mov_b32_e32 v4, s24
	s_cmp_gt_i32 s24, 1
	s_mov_b32 s25, 2
	buffer_store_dword v4, off, s[0:3], s32 offset:108
	s_cbranch_scc1 .LBB7_268
; %bb.267:                              ;   in Loop: Header=BB7_4 Depth=1
	v_mov_b32_e32 v4, s24
	s_mov_b32 s25, s24
	buffer_store_dword v4, off, s[0:3], s32 offset:116
.LBB7_268:                              ;   in Loop: Header=BB7_4 Depth=1
	s_andn2_b64 vcc, exec, s[16:17]
	s_cbranch_vccnz .LBB7_273
; %bb.269:                              ;   in Loop: Header=BB7_4 Depth=1
	s_lshr_b32 s17, s20, 31
	s_lshl_b32 s16, s24, 1
	s_add_i32 s17, s20, s17
	v_mov_b32_e32 v4, s16
	s_ashr_i32 s17, s17, 1
	buffer_store_dword v4, off, s[0:3], s32 offset:120
	v_mov_b32_e32 v4, s17
	s_cmp_ge_i32 s16, s21
	buffer_store_dword v4, off, s[0:3], s32 offset:132
	s_cbranch_scc1 .LBB7_272
; %bb.270:                              ;   in Loop: Header=BB7_4 Depth=1
	s_ashr_i32 s18, s20, 31
	s_lshr_b32 s17, s18, 30
	s_lshl_b32 s16, s24, 2
	s_add_i32 s17, s20, s17
	v_mov_b32_e32 v4, s16
	s_ashr_i32 s17, s17, 2
	buffer_store_dword v4, off, s[0:3], s32 offset:120
	v_mov_b32_e32 v4, s17
	s_cmp_ge_i32 s16, s21
	buffer_store_dword v4, off, s[0:3], s32 offset:132
	s_cbranch_scc1 .LBB7_272
; %bb.271:                              ;   in Loop: Header=BB7_4 Depth=1
	s_lshr_b32 s17, s18, 29
	s_lshl_b32 s16, s24, 3
	s_add_i32 s17, s20, s17
	v_mov_b32_e32 v4, s16
	s_ashr_i32 s17, s17, 3
	buffer_store_dword v4, off, s[0:3], s32 offset:120
	v_mov_b32_e32 v4, s17
	buffer_store_dword v4, off, s[0:3], s32 offset:132
.LBB7_272:                              ;   in Loop: Header=BB7_4 Depth=1
	s_mov_b32 s24, s16
	s_mov_b32 s20, s17
.LBB7_273:                              ;   in Loop: Header=BB7_4 Depth=1
	s_cmp_lt_u32 s20, 2
	s_cselect_b64 s[18:19], -1, 0
	s_lshr_b32 s16, s24, 31
	s_add_i32 s16, s24, s16
	s_ashr_i32 s26, s16, 1
	s_add_i32 s16, s24, -2
	v_cmp_lt_i64_e32 vcc, v[0:1], v[2:3]
	s_cmp_lt_u32 s16, -3
	v_sub_u32_e64 v4, s20, 1 clamp
	s_cselect_b64 s[16:17], -1, 0
	v_ffbh_u32_e32 v4, v4
	v_cndmask_b32_e32 v0, v2, v0, vcc
	s_and_b64 s[20:21], s[16:17], exec
	v_sub_u32_e32 v6, 32, v4
	buffer_store_dword v0, off, s[0:3], s32 offset:92
	v_mov_b32_e32 v0, s26
	s_cselect_b32 s20, 2, 1
	v_mov_b32_e32 v5, 0
	v_cndmask_b32_e64 v4, v6, 0, s[18:19]
	buffer_store_dword v0, off, s[0:3], s32 offset:136
	v_mov_b32_e32 v0, s20
	s_and_b64 vcc, exec, s[18:19]
	s_mov_b32 s18, s34
	buffer_store_dword v4, off, s[0:3], s32 offset:144
	buffer_store_dword v0, off, s[0:3], s32 offset:140
	;; [unrolled: 1-line block ×3, first 2 shown]
	s_cbranch_vccnz .LBB7_283
.LBB7_274:                              ;   Parent Loop BB7_4 Depth=1
                                        ; =>  This Inner Loop Header: Depth=2
	v_mov_b32_e32 v0, s18
	buffer_store_dword v6, v0, s[0:3], 0 offen
	v_add_u32_e32 v6, -1, v6
	v_cmp_ne_u32_e32 vcc, 0, v6
	s_add_i32 s18, s18, 4
	buffer_store_dword v32, v0, s[0:3], 0 offen offset:128
	s_cbranch_vccnz .LBB7_274
; %bb.275:                              ;   in Loop: Header=BB7_4 Depth=1
	v_mov_b32_e32 v5, 0
	s_mov_b32 s27, 0
	s_mov_b32 s28, s34
	s_branch .LBB7_279
.LBB7_276:                              ;   in Loop: Header=BB7_279 Depth=2
	s_or_b64 exec, exec, s[22:23]
	v_add_u32_e32 v1, 1, v1
	v_mov_b32_e32 v2, s28
	buffer_store_dword v1, v2, s[0:3], 0 offen offset:128
.LBB7_277:                              ;   in Loop: Header=BB7_279 Depth=2
	s_or_b64 exec, exec, s[20:21]
	v_mov_b32_e32 v5, v0
.LBB7_278:                              ;   in Loop: Header=BB7_279 Depth=2
	s_or_b64 exec, exec, s[18:19]
	s_add_i32 s27, s27, 1
	v_cmp_ne_u32_e32 vcc, s27, v4
	s_add_i32 s28, s28, 4
	s_cbranch_vccz .LBB7_283
.LBB7_279:                              ;   Parent Loop BB7_4 Depth=1
                                        ; =>  This Inner Loop Header: Depth=2
	v_mov_b32_e32 v0, s28
	buffer_load_dword v1, v0, s[0:3], 0 offen
	s_waitcnt vmcnt(0)
	v_add_u32_e32 v1, -1, v1
	v_cmp_eq_u32_e32 vcc, 0, v1
	buffer_store_dword v1, v0, s[0:3], 0 offen
	s_and_saveexec_b64 s[18:19], vcc
	s_cbranch_execz .LBB7_278
; %bb.280:                              ;   in Loop: Header=BB7_279 Depth=2
	s_lshl_b32 s29, 1, s27
	v_xor_b32_e32 v0, s29, v5
	v_mov_b32_e32 v1, s29
	v_mov_b32_e32 v2, s28
	buffer_store_dword v0, off, s[0:3], s32 offset:148
	buffer_store_dword v1, v2, s[0:3], 0 offen
	v_and_b32_e32 v1, s29, v5
	v_cmp_ne_u32_e32 vcc, 0, v1
	s_and_saveexec_b64 s[20:21], vcc
	s_cbranch_execz .LBB7_277
; %bb.281:                              ;   in Loop: Header=BB7_279 Depth=2
	v_mov_b32_e32 v2, s28
	buffer_load_dword v1, v2, s[0:3], 0 offen offset:128
	s_waitcnt vmcnt(0)
	v_ffbl_b32_e32 v3, v1
	v_cmp_eq_u32_e32 vcc, 0, v1
	v_cndmask_b32_e32 v3, v3, v4, vcc
	v_add3_u32 v3, s29, -1, v3
	v_cmp_eq_u32_e32 vcc, 0, v3
	buffer_store_dword v3, v2, s[0:3], 0 offen
	s_and_saveexec_b64 s[22:23], vcc
	s_cbranch_execz .LBB7_276
; %bb.282:                              ;   in Loop: Header=BB7_279 Depth=2
	v_mov_b32_e32 v0, s29
	v_mov_b32_e32 v2, s28
	buffer_store_dword v5, off, s[0:3], s32 offset:148
	buffer_store_dword v0, v2, s[0:3], 0 offen
	v_mov_b32_e32 v0, v5
	s_branch .LBB7_276
.LBB7_283:                              ;   in Loop: Header=BB7_4 Depth=1
	s_andn2_b64 vcc, exec, s[16:17]
	buffer_store_dword v5, off, s[0:3], s32 offset:124
	buffer_store_dword v10, off, s[0:3], s32 offset:128
	s_cbranch_vccnz .LBB7_285
; %bb.284:                              ;   in Loop: Header=BB7_4 Depth=1
	s_lshl_b32 s16, s26, 1
	s_ashr_i32 s17, s26, 31
	s_add_i32 s16, s16, s17
	s_xor_b32 s16, s16, s17
	v_cvt_f32_u32_e32 v0, s16
	s_ashr_i32 s18, s24, 31
	s_xor_b32 s17, s18, s17
	s_sub_i32 s18, 0, s16
	v_rcp_iflag_f32_e32 v0, v0
	s_abs_i32 s19, s24
	v_mul_f32_e32 v0, 0x4f7ffffe, v0
	v_cvt_u32_f32_e32 v0, v0
	v_readfirstlane_b32 s20, v0
	s_mul_i32 s18, s18, s20
	s_mul_hi_u32 s18, s20, s18
	s_add_i32 s20, s20, s18
	s_mul_hi_u32 s18, s19, s20
	s_mul_i32 s20, s18, s16
	s_sub_i32 s19, s19, s20
	s_add_i32 s21, s18, 1
	s_sub_i32 s20, s19, s16
	s_cmp_ge_u32 s19, s16
	s_cselect_b32 s18, s21, s18
	s_cselect_b32 s19, s20, s19
	s_add_i32 s20, s18, 1
	s_cmp_ge_u32 s19, s16
	s_cselect_b32 s16, s20, s18
	s_xor_b32 s16, s16, s17
	s_sub_i32 s24, s16, s17
.LBB7_285:                              ;   in Loop: Header=BB7_4 Depth=1
	v_mov_b32_e32 v0, s24
	buffer_store_dword v0, off, s[0:3], s32 offset:112
	v_mov_b32_e32 v0, s25
	s_mov_b32 s60, 0
	s_mov_b64 s[24:25], 0
	ds_write_b32 v0, v0
	s_trap 2
	s_branch .LBB7_288
.LBB7_286:                              ;   in Loop: Header=BB7_288 Depth=2
	s_or_b64 exec, exec, s[16:17]
	s_andn2_b64 s[26:27], s[26:27], exec
.LBB7_287:                              ;   in Loop: Header=BB7_288 Depth=2
	s_or_b64 exec, exec, s[20:21]
	s_add_i32 s60, s60, 1
	s_and_b64 s[16:17], exec, s[26:27]
	v_cndmask_b32_e64 v0, 1, 3, s[18:19]
	s_or_b64 s[24:25], s[16:17], s[24:25]
	ds_write_b32 v0, v0 offset:36
	s_andn2_b64 exec, exec, s[24:25]
	s_cbranch_execz .LBB7_2
.LBB7_288:                              ;   Parent Loop BB7_4 Depth=1
                                        ; =>  This Loop Header: Depth=2
                                        ;       Child Loop BB7_289 Depth 3
                                        ;       Child Loop BB7_346 Depth 3
	;; [unrolled: 1-line block ×4, first 2 shown]
	s_trap 2
.LBB7_289:                              ;   Parent Loop BB7_4 Depth=1
                                        ;     Parent Loop BB7_288 Depth=2
                                        ; =>    This Inner Loop Header: Depth=3
	ds_read_b32 v0, v0 offset:36
	s_waitcnt lgkmcnt(0)
	v_cmp_ne_u32_e32 vcc, 0, v0
	s_cbranch_vccnz .LBB7_289
; %bb.290:                              ;   in Loop: Header=BB7_288 Depth=2
	buffer_load_dword v0, off, s[0:3], s32 offset:64
	buffer_load_dword v1, off, s[0:3], s32 offset:68
	;; [unrolled: 1-line block ×6, first 2 shown]
	s_mov_b64 s[18:19], -1
	s_waitcnt vmcnt(0)
	ds_write2_b32 v0, v4, v10 offset0:7 offset1:8
	ds_write_b64 v0, v[0:1] offset:40
	v_cmp_lt_i32_e32 vcc, v6, v7
	s_and_saveexec_b64 s[26:27], vcc
	s_cbranch_execz .LBB7_324
; %bb.291:                              ;   in Loop: Header=BB7_288 Depth=2
	v_cmp_lt_i32_e32 vcc, 0, v5
                                        ; implicit-def: $sgpr28_sgpr29
	s_and_saveexec_b64 s[16:17], vcc
	s_xor_b64 s[44:45], exec, s[16:17]
	s_cbranch_execz .LBB7_317
; %bb.292:                              ;   in Loop: Header=BB7_288 Depth=2
	v_cmp_lt_i32_e32 vcc, 1, v5
                                        ; implicit-def: $sgpr28_sgpr29
	s_and_saveexec_b64 s[16:17], vcc
	s_xor_b64 s[16:17], exec, s[16:17]
	s_cbranch_execz .LBB7_304
; %bb.293:                              ;   in Loop: Header=BB7_288 Depth=2
	v_cmp_eq_u32_e32 vcc, 2, v5
	s_mov_b64 s[28:29], 0
	s_and_saveexec_b64 s[18:19], vcc
	s_cbranch_execz .LBB7_303
; %bb.294:                              ;   in Loop: Header=BB7_288 Depth=2
	buffer_load_dword v8, off, s[0:3], s32 offset:108
	buffer_load_dword v2, off, s[0:3], s32 offset:132
	;; [unrolled: 1-line block ×3, first 2 shown]
	v_sub_u32_e32 v13, 0, v6
	v_max_i32_e32 v16, v6, v13
                                        ; implicit-def: $vgpr17
	s_waitcnt vmcnt(2)
	v_sub_u32_e32 v9, 0, v8
	v_max_i32_e32 v9, v8, v9
	v_cvt_f32_u32_e32 v11, v9
	v_sub_u32_e32 v12, 0, v9
	s_waitcnt vmcnt(0)
	v_mul_lo_u32 v15, v2, v3
	v_ashrrev_i32_e32 v14, 31, v8
	v_rcp_iflag_f32_e32 v11, v11
	v_mul_f32_e32 v11, 0x4f7ffffe, v11
	v_cvt_u32_f32_e32 v11, v11
	v_mul_lo_u32 v12, v12, v11
	v_mul_hi_u32 v12, v11, v12
	v_add_u32_e32 v13, v11, v12
	v_mul_hi_u32 v11, v16, v13
	v_ashrrev_i32_e32 v12, 31, v6
	v_xor_b32_e32 v3, v12, v14
	v_mul_lo_u32 v2, v11, v9
	v_add_u32_e32 v12, 1, v11
	v_sub_u32_e32 v2, v16, v2
	v_cmp_ge_u32_e32 vcc, v2, v9
	v_cndmask_b32_e32 v11, v11, v12, vcc
	v_sub_u32_e32 v12, v2, v9
	v_cndmask_b32_e32 v2, v2, v12, vcc
	v_add_u32_e32 v12, 1, v11
	v_cmp_ge_u32_e32 vcc, v2, v9
	v_cndmask_b32_e32 v2, v11, v12, vcc
	v_xor_b32_e32 v2, v2, v3
	v_sub_u32_e32 v2, v2, v3
	v_mul_lo_u32 v3, v2, v8
	v_lshlrev_b32_e32 v16, 1, v6
	v_or_b32_e32 v11, 1, v16
	v_mul_lo_u32 v11, v15, v11
	v_sub_u32_e32 v18, v6, v3
	v_add_u32_e32 v3, -1, v8
	v_cmp_ne_u32_e32 vcc, v18, v3
                                        ; implicit-def: $vgpr12
	s_and_saveexec_b64 s[20:21], vcc
	s_xor_b64 s[20:21], exec, s[20:21]
	s_cbranch_execz .LBB7_296
; %bb.295:                              ;   in Loop: Header=BB7_288 Depth=2
	buffer_load_dword v12, off, s[0:3], s32 offset:100
	v_lshl_add_u32 v3, v15, 1, v11
	s_waitcnt vmcnt(0)
	v_cmp_ge_i32_e32 vcc, v3, v12
	v_cndmask_b32_e64 v17, 0, 1, vcc
.LBB7_296:                              ;   in Loop: Header=BB7_288 Depth=2
	s_andn2_saveexec_b64 s[20:21], s[20:21]
	s_cbranch_execz .LBB7_298
; %bb.297:                              ;   in Loop: Header=BB7_288 Depth=2
	buffer_load_dword v12, off, s[0:3], s32 offset:100
	v_mov_b32_e32 v17, 1
.LBB7_298:                              ;   in Loop: Header=BB7_288 Depth=2
	s_or_b64 exec, exec, s[20:21]
	buffer_load_dword v3, off, s[0:3], s32 offset:104
	buffer_load_dword v19, off, s[0:3], s32 offset:96
	;; [unrolled: 1-line block ×4, first 2 shown]
	s_waitcnt vmcnt(4)
	v_sub_u32_e32 v22, 0, v12
	v_max_i32_e32 v22, v12, v22
	v_cvt_f32_u32_e32 v23, v22
	v_sub_u32_e32 v24, 0, v22
	v_ffbl_b32_e32 v25, v11
	v_cmp_eq_u32_e32 vcc, 0, v15
	v_rcp_iflag_f32_e32 v23, v23
	v_mul_lo_u32 v26, v18, v4
	ds_write2_b32 v0, v10, v17 offset0:5 offset1:6
	ds_write2_b32 v0, v26, v2 offset0:3 offset1:4
	v_mul_f32_e32 v23, 0x4f7ffffe, v23
	v_cvt_u32_f32_e32 v23, v23
	v_mul_lo_u32 v24, v24, v23
	v_mul_hi_u32 v24, v23, v24
	v_add_u32_e32 v23, v23, v24
	s_waitcnt vmcnt(3)
	v_cndmask_b32_e32 v3, v25, v3, vcc
	v_lshl_add_u32 v24, -1, v3, v11
	s_waitcnt vmcnt(2)
	v_add3_u32 v19, v24, v12, v19
	v_sub_u32_e32 v25, 0, v19
	v_max_i32_e32 v25, v19, v25
	v_mul_hi_u32 v23, v25, v23
	v_ashrrev_i32_e32 v18, 31, v19
	v_ffbl_b32_e32 v2, v24
	v_mul_lo_u32 v23, v23, v22
	v_sub_u32_e32 v19, v25, v23
	v_sub_u32_e32 v23, v19, v22
	v_cmp_ge_u32_e32 vcc, v19, v22
	v_cndmask_b32_e32 v19, v19, v23, vcc
	v_sub_u32_e32 v23, v19, v22
	v_cmp_ge_u32_e32 vcc, v19, v22
	v_cndmask_b32_e32 v19, v19, v23, vcc
	v_xor_b32_e32 v19, v19, v18
	v_sub_u32_e32 v18, v19, v18
	v_ashrrev_i32_e32 v22, 31, v18
	s_waitcnt vmcnt(1)
	v_mul_lo_u32 v20, v20, v18
	s_waitcnt vmcnt(0)
	v_mad_u64_u32 v[18:19], s[20:21], v21, v18, v[0:1]
	v_mul_lo_u32 v21, v21, v22
	v_cmp_ne_u32_e32 vcc, 0, v24
	v_add3_u32 v19, v20, v19, v21
	ds_write2_b64 v0, v[2:3], v[18:19] offset1:6
	s_and_saveexec_b64 s[20:21], vcc
	s_xor_b64 s[20:21], exec, s[20:21]
	s_cbranch_execz .LBB7_300
; %bb.299:                              ;   in Loop: Header=BB7_288 Depth=2
	v_mul_lo_u32 v3, v15, v16
	v_add_u32_e32 v2, 1, v2
	v_ashrrev_i32_e32 v2, v2, v3
	v_sub_u32_e32 v3, 0, v2
	v_max_i32_e32 v3, v2, v3
	v_mul_hi_u32 v13, v3, v13
	v_ashrrev_i32_e32 v16, 31, v2
	v_xor_b32_e32 v14, v16, v14
	v_mul_lo_u32 v15, v13, v9
	v_add_u32_e32 v16, 1, v13
	v_sub_u32_e32 v3, v3, v15
	v_cmp_ge_u32_e32 vcc, v3, v9
	v_sub_u32_e32 v15, v3, v9
	v_cndmask_b32_e32 v13, v13, v16, vcc
	v_cndmask_b32_e32 v3, v3, v15, vcc
	v_add_u32_e32 v15, 1, v13
	v_cmp_ge_u32_e32 vcc, v3, v9
	v_cndmask_b32_e32 v3, v13, v15, vcc
	v_xor_b32_e32 v3, v3, v14
	v_sub_u32_e32 v3, v3, v14
	v_mul_lo_u32 v8, v3, v8
	v_sub_u32_e32 v2, v2, v8
	v_mul_lo_u32 v2, v2, v4
	ds_write2_b32 v0, v2, v3 offset0:2 offset1:4
.LBB7_300:                              ;   in Loop: Header=BB7_288 Depth=2
	s_andn2_saveexec_b64 s[20:21], s[20:21]
; %bb.301:                              ;   in Loop: Header=BB7_288 Depth=2
	ds_write_b32 v0, v31 offset:8
; %bb.302:                              ;   in Loop: Header=BB7_288 Depth=2
	s_or_b64 exec, exec, s[20:21]
	v_cmp_ge_i32_e32 vcc, v11, v12
	s_and_b64 s[28:29], vcc, exec
.LBB7_303:                              ;   in Loop: Header=BB7_288 Depth=2
	s_or_b64 exec, exec, s[18:19]
                                        ; implicit-def: $vgpr4
.LBB7_304:                              ;   in Loop: Header=BB7_288 Depth=2
	s_andn2_saveexec_b64 s[46:47], s[16:17]
	s_cbranch_execz .LBB7_316
; %bb.305:                              ;   in Loop: Header=BB7_288 Depth=2
	buffer_load_dword v3, off, s[0:3], s32 offset:132
	buffer_load_dword v8, off, s[0:3], s32 offset:100
	;; [unrolled: 1-line block ×8, first 2 shown]
	v_sub_u32_e32 v14, 0, v6
	v_ashrrev_i32_e32 v16, 31, v6
	v_max_i32_e32 v22, v6, v14
	s_waitcnt vmcnt(7)
	v_mul_lo_u32 v15, v3, v6
	s_waitcnt vmcnt(6)
	v_sub_u32_e32 v18, 0, v8
	s_waitcnt vmcnt(5)
	v_sub_u32_e32 v20, 0, v9
	v_max_i32_e32 v23, v8, v18
	v_max_i32_e32 v18, v9, v20
	v_cvt_f32_u32_e32 v20, v23
	v_cvt_f32_u32_e32 v25, v18
	v_ashrrev_i32_e32 v14, 31, v9
	v_xor_b32_e32 v24, v16, v14
	s_waitcnt vmcnt(4)
	v_add_u32_e32 v16, v15, v11
	v_ffbl_b32_e32 v27, v16
	v_cmp_eq_u32_e32 vcc, 0, v16
	v_add_u32_e32 v28, v16, v3
	s_waitcnt vmcnt(3)
	v_cndmask_b32_e32 v3, v27, v19, vcc
	v_rcp_iflag_f32_e32 v19, v20
	v_rcp_iflag_f32_e32 v25, v25
	v_cmp_ge_i32_e64 s[16:17], v28, v8
	v_cmp_gt_i32_e32 vcc, v28, v8
	v_mul_f32_e32 v19, 0x4f7ffffe, v19
	v_mul_f32_e32 v25, 0x4f7ffffe, v25
	v_cvt_u32_f32_e32 v28, v19
	v_cvt_u32_f32_e32 v25, v25
	v_sub_u32_e32 v21, 0, v23
	v_sub_u32_e32 v26, 0, v18
	v_mul_lo_u32 v21, v21, v28
	v_mul_lo_u32 v26, v26, v25
	v_lshlrev_b32_e64 v20, v3, -1
	v_add_u32_e32 v19, v20, v16
	s_waitcnt vmcnt(2)
	v_add3_u32 v34, v2, v8, v19
	v_mul_hi_u32 v2, v28, v21
	v_mul_hi_u32 v21, v25, v26
	v_sub_u32_e32 v26, 0, v34
	v_max_i32_e32 v26, v34, v26
	v_add_u32_e32 v2, v28, v2
	v_add_u32_e32 v21, v25, v21
	v_mul_hi_u32 v28, v22, v21
	v_mul_hi_u32 v25, v26, v2
	v_ashrrev_i32_e32 v34, 31, v34
	v_add_u32_e32 v17, -1, v9
	v_mul_lo_u32 v35, v28, v18
	v_mul_lo_u32 v25, v25, v23
	v_add_u32_e32 v36, 1, v28
	v_cndmask_b32_e64 v27, 0, 1, vcc
	v_sub_u32_e32 v22, v22, v35
	v_sub_u32_e32 v25, v26, v25
	v_cmp_ge_u32_e64 s[20:21], v22, v18
	v_sub_u32_e32 v35, v22, v18
	v_sub_u32_e32 v26, v25, v23
	v_cndmask_b32_e64 v28, v28, v36, s[20:21]
	v_cmp_ge_u32_e64 s[22:23], v25, v23
	v_cndmask_b32_e64 v22, v22, v35, s[20:21]
	v_cndmask_b32_e64 v25, v25, v26, s[22:23]
	v_add_u32_e32 v26, 1, v28
	v_cmp_ge_u32_e64 s[20:21], v22, v18
	v_cndmask_b32_e64 v22, v28, v26, s[20:21]
	v_xor_b32_e32 v22, v22, v24
	v_sub_u32_e32 v35, v25, v23
	v_cmp_ge_u32_e64 s[20:21], v25, v23
	v_sub_u32_e32 v22, v22, v24
	v_cndmask_b32_e64 v23, v25, v35, s[20:21]
	v_mul_lo_u32 v25, v22, v9
	v_xor_b32_e32 v23, v23, v34
	v_sub_u32_e32 v23, v23, v34
	v_ashrrev_i32_e32 v26, 31, v23
	s_waitcnt vmcnt(1)
	v_mul_lo_u32 v13, v13, v23
	s_waitcnt vmcnt(0)
	v_mad_u64_u32 v[23:24], s[20:21], v12, v23, v[0:1]
	v_mul_lo_u32 v26, v12, v26
	v_sub_u32_e32 v25, v6, v25
	v_mul_lo_u32 v12, v25, v4
	v_cmp_eq_u32_e64 s[22:23], v25, v17
	v_cmp_eq_u32_e32 vcc, 0, v3
	v_cmp_ne_u32_e64 s[20:21], v25, v17
	s_or_b64 s[16:17], s[22:23], s[16:17]
	v_cndmask_b32_e64 v33, 0, 1, vcc
	v_add3_u32 v24, v13, v24, v26
	v_cndmask_b32_e64 v13, 0, 1, s[16:17]
	s_and_b64 s[16:17], vcc, s[20:21]
	v_cmp_ne_u32_e64 s[18:19], 0, v19
	v_ffbl_b32_e32 v2, v19
	v_cndmask_b32_e64 v25, v33, v27, s[16:17]
	ds_write_b64 v0, v[23:24] offset:48
	ds_write_b32 v0, v13 offset:24
	v_mov_b32_e32 v13, v12
	v_cndmask_b32_e64 v22, v22, 0, vcc
	v_and_b32_e32 v23, 1, v25
	ds_write2_b64 v0, v[2:3], v[12:13] offset1:1
	ds_write_b64 v0, v[22:23] offset:16
	s_and_saveexec_b64 s[16:17], s[18:19]
	s_xor_b64 s[20:21], exec, s[16:17]
	s_cbranch_execz .LBB7_311
; %bb.306:                              ;   in Loop: Header=BB7_288 Depth=2
	v_sub_u32_e32 v3, 0, v11
	v_cmp_eq_u32_e64 s[16:17], v20, v3
	s_and_saveexec_b64 s[22:23], s[16:17]
	s_cbranch_execz .LBB7_310
; %bb.307:                              ;   in Loop: Header=BB7_288 Depth=2
	v_add_u32_e32 v3, 1, v2
	v_ashrrev_i32_e32 v11, v3, v15
	v_sub_u32_e32 v3, 0, v11
	v_max_i32_e32 v3, v11, v3
	v_mul_hi_u32 v12, v3, v21
	v_ashrrev_i32_e32 v15, 31, v11
	v_xor_b32_e32 v14, v15, v14
	v_mul_lo_u32 v13, v12, v18
	v_add_u32_e32 v15, 1, v12
	v_sub_u32_e32 v3, v3, v13
	v_cmp_ge_u32_e64 s[16:17], v3, v18
	v_sub_u32_e32 v13, v3, v18
	v_cndmask_b32_e64 v12, v12, v15, s[16:17]
	v_cndmask_b32_e64 v3, v3, v13, s[16:17]
	v_add_u32_e32 v13, 1, v12
	v_cmp_ge_u32_e64 s[16:17], v3, v18
	v_cndmask_b32_e64 v3, v12, v13, s[16:17]
	v_xor_b32_e32 v3, v3, v14
	v_sub_u32_e32 v3, v3, v14
	v_mul_lo_u32 v9, v3, v9
	v_sub_u32_e32 v9, v11, v9
	v_mul_lo_u32 v12, v9, v4
	v_mov_b32_e32 v4, 0
	ds_write_b32 v0, v12 offset:8
	s_and_saveexec_b64 s[56:57], vcc
; %bb.308:                              ;   in Loop: Header=BB7_288 Depth=2
	v_lshlrev_b32_e32 v3, 1, v11
	v_add_lshl_u32 v2, v3, 3, v2
	v_cmp_eq_u32_e64 s[16:17], v9, v17
	v_cmp_ge_i32_e64 s[18:19], v2, v8
	s_or_b64 s[16:17], s[16:17], s[18:19]
	v_cndmask_b32_e64 v4, 0, 1, s[16:17]
	v_mov_b32_e32 v3, 0
; %bb.309:                              ;   in Loop: Header=BB7_288 Depth=2
	s_or_b64 exec, exec, s[56:57]
	ds_write_b64 v0, v[3:4] offset:16
.LBB7_310:                              ;   in Loop: Header=BB7_288 Depth=2
	s_or_b64 exec, exec, s[22:23]
.LBB7_311:                              ;   in Loop: Header=BB7_288 Depth=2
	s_andn2_saveexec_b64 s[16:17], s[20:21]
; %bb.312:                              ;   in Loop: Header=BB7_288 Depth=2
	ds_write2_b32 v0, v31, v10 offset0:2 offset1:5
; %bb.313:                              ;   in Loop: Header=BB7_288 Depth=2
	s_or_b64 exec, exec, s[16:17]
	v_cmp_ge_i32_e64 s[18:19], v16, v8
	v_cmp_lt_i32_e64 s[16:17], v19, v8
	s_and_b64 s[16:17], s[18:19], s[16:17]
	s_and_b64 s[20:21], vcc, s[16:17]
	s_and_saveexec_b64 s[16:17], s[20:21]
	s_cbranch_execz .LBB7_315
; %bb.314:                              ;   in Loop: Header=BB7_288 Depth=2
	s_andn2_b64 s[18:19], s[18:19], exec
	ds_write2_b32 v0, v31, v31 offset0:1 offset1:3
	ds_write_b32 v0, v10 offset:24
.LBB7_315:                              ;   in Loop: Header=BB7_288 Depth=2
	s_or_b64 exec, exec, s[16:17]
	s_andn2_b64 s[16:17], s[28:29], exec
	s_and_b64 s[18:19], s[18:19], exec
	s_or_b64 s[28:29], s[16:17], s[18:19]
.LBB7_316:                              ;   in Loop: Header=BB7_288 Depth=2
	s_or_b64 exec, exec, s[46:47]
                                        ; implicit-def: $vgpr4
.LBB7_317:                              ;   in Loop: Header=BB7_288 Depth=2
	s_andn2_saveexec_b64 s[16:17], s[44:45]
	s_cbranch_execz .LBB7_323
; %bb.318:                              ;   in Loop: Header=BB7_288 Depth=2
	v_cmp_eq_u32_e32 vcc, 0, v5
	s_mov_b64 s[20:21], 0
	s_and_saveexec_b64 s[18:19], vcc
	s_cbranch_execz .LBB7_322
; %bb.319:                              ;   in Loop: Header=BB7_288 Depth=2
	buffer_load_dword v8, off, s[0:3], s32 offset:100
	buffer_load_dword v14, off, s[0:3], s32 offset:108
	buffer_load_dword v2, off, s[0:3], s32 offset:124
	buffer_load_dword v9, off, s[0:3], s32 offset:132
	buffer_load_dword v15, off, s[0:3], s32 offset:96
	buffer_load_dword v13, off, s[0:3], s32 offset:84
	buffer_load_dword v12, off, s[0:3], s32 offset:80
	v_sub_u32_e32 v20, 0, v6
	v_max_i32_e32 v20, v6, v20
	v_ashrrev_i32_e32 v19, 31, v6
	v_mov_b32_e32 v11, v10
	ds_write_b32 v0, v10 offset:16
	s_waitcnt vmcnt(6)
	v_sub_u32_e32 v3, 0, v8
	s_waitcnt vmcnt(5)
	v_sub_u32_e32 v16, 0, v14
	v_max_i32_e32 v17, v8, v3
	v_max_i32_e32 v16, v14, v16
	v_cvt_f32_u32_e32 v3, v17
	v_cvt_f32_u32_e32 v18, v16
	v_sub_u32_e32 v22, 0, v16
	v_rcp_iflag_f32_e32 v21, v3
	v_rcp_iflag_f32_e32 v18, v18
	s_waitcnt vmcnt(3)
	v_mad_u64_u32 v[2:3], s[20:21], v9, v6, v[2:3]
	v_mul_f32_e32 v3, 0x4f7ffffe, v21
	v_mul_f32_e32 v18, 0x4f7ffffe, v18
	v_cvt_u32_f32_e32 v3, v3
	v_cvt_u32_f32_e32 v18, v18
	v_sub_u32_e32 v21, 0, v17
	s_waitcnt vmcnt(2)
	v_add_u32_e32 v23, v15, v2
	v_mul_lo_u32 v21, v21, v3
	v_mul_lo_u32 v22, v22, v18
	v_mul_hi_u32 v15, v3, v21
	v_mul_hi_u32 v21, v18, v22
	v_sub_u32_e32 v22, 0, v23
	v_max_i32_e32 v22, v23, v22
	v_add_u32_e32 v3, v3, v15
	v_add_u32_e32 v15, v18, v21
	v_mul_hi_u32 v3, v22, v3
	v_mul_hi_u32 v18, v20, v15
	v_add_u32_e32 v21, -1, v14
	v_ashrrev_i32_e32 v14, 31, v23
	v_mul_lo_u32 v3, v3, v17
	v_mul_lo_u32 v18, v18, v16
	v_mov_b32_e32 v15, v31
	v_sub_u32_e32 v3, v22, v3
	v_sub_u32_e32 v18, v20, v18
	;; [unrolled: 1-line block ×3, first 2 shown]
	v_cmp_ge_u32_e32 vcc, v3, v17
	v_sub_u32_e32 v22, v18, v16
	v_cndmask_b32_e32 v3, v3, v20, vcc
	v_cmp_ge_u32_e32 vcc, v18, v16
	v_cndmask_b32_e32 v18, v18, v22, vcc
	v_sub_u32_e32 v20, v3, v17
	v_cmp_ge_u32_e32 vcc, v3, v17
	v_cndmask_b32_e32 v3, v3, v20, vcc
	v_xor_b32_e32 v3, v3, v14
	v_sub_u32_e32 v22, v18, v16
	v_cmp_ge_u32_e32 vcc, v18, v16
	v_sub_u32_e32 v3, v3, v14
	v_cndmask_b32_e32 v16, v18, v22, vcc
	v_ashrrev_i32_e32 v14, 31, v3
	v_xor_b32_e32 v18, v16, v19
	s_waitcnt vmcnt(1)
	v_mul_lo_u32 v13, v13, v3
	s_waitcnt vmcnt(0)
	v_mad_u64_u32 v[16:17], s[20:21], v12, v3, v[0:1]
	v_mul_lo_u32 v3, v12, v14
	v_sub_u32_e32 v12, v18, v19
	v_mul_lo_u32 v14, v12, v4
	v_cmp_ne_u32_e32 vcc, v12, v21
	v_add3_u32 v17, v13, v17, v3
	ds_write2_b64 v0, v[10:11], v[16:17] offset0:5 offset1:6
	v_mov_b32_e32 v11, v31
	v_mov_b32_e32 v3, 1
	ds_write2_b64 v0, v[10:11], v[14:15] offset1:1
	s_and_saveexec_b64 s[20:21], vcc
; %bb.320:                              ;   in Loop: Header=BB7_288 Depth=2
	v_add_u32_e32 v3, v2, v9
	v_cmp_ge_i32_e32 vcc, v3, v8
	v_cndmask_b32_e64 v3, 0, 1, vcc
; %bb.321:                              ;   in Loop: Header=BB7_288 Depth=2
	s_or_b64 exec, exec, s[20:21]
	v_cmp_ge_i32_e32 vcc, v2, v8
	s_and_b64 s[20:21], vcc, exec
	ds_write2_b32 v0, v3, v10 offset0:5 offset1:6
.LBB7_322:                              ;   in Loop: Header=BB7_288 Depth=2
	s_or_b64 exec, exec, s[18:19]
	s_andn2_b64 s[18:19], s[28:29], exec
	s_and_b64 s[20:21], s[20:21], exec
	s_or_b64 s[28:29], s[18:19], s[20:21]
.LBB7_323:                              ;   in Loop: Header=BB7_288 Depth=2
	s_or_b64 exec, exec, s[16:17]
	s_orn2_b64 s[18:19], s[28:29], exec
.LBB7_324:                              ;   in Loop: Header=BB7_288 Depth=2
	s_or_b64 exec, exec, s[26:27]
	buffer_load_dword v2, off, s[0:3], s32 offset:116
	v_add_u32_e32 v3, 1, v6
	buffer_store_dword v3, off, s[0:3], s32 offset:128
                                        ; implicit-def: $sgpr26_sgpr27
	s_waitcnt vmcnt(1)
	v_max_i32_e32 v4, v7, v2
	v_cmp_le_i32_e32 vcc, v4, v3
	s_and_saveexec_b64 s[16:17], vcc
	s_xor_b64 s[20:21], exec, s[16:17]
	s_cbranch_execz .LBB7_376
; %bb.325:                              ;   in Loop: Header=BB7_288 Depth=2
	v_cmp_lt_i32_e32 vcc, 1, v5
                                        ; implicit-def: $vgpr2
	s_and_saveexec_b64 s[16:17], vcc
	s_xor_b64 s[16:17], exec, s[16:17]
	s_cbranch_execz .LBB7_329
; %bb.326:                              ;   in Loop: Header=BB7_288 Depth=2
	v_cmp_eq_u32_e32 vcc, 2, v5
	v_mov_b32_e32 v2, 1
	s_and_saveexec_b64 s[22:23], vcc
	s_cbranch_execz .LBB7_328
; %bb.327:                              ;   in Loop: Header=BB7_288 Depth=2
	buffer_load_dword v2, off, s[0:3], s32 offset:136
	s_waitcnt vmcnt(0)
	v_lshrrev_b32_e32 v3, 31, v2
	v_add_u32_e32 v4, 1, v2
	v_add_u32_e32 v2, v2, v3
	v_ashrrev_i32_e32 v2, 1, v2
	v_cmp_gt_u32_e32 vcc, 3, v4
	buffer_store_dword v2, off, s[0:3], s32 offset:136
	v_cndmask_b32_e64 v2, 2, 1, vcc
.LBB7_328:                              ;   in Loop: Header=BB7_288 Depth=2
	s_or_b64 exec, exec, s[22:23]
.LBB7_329:                              ;   in Loop: Header=BB7_288 Depth=2
	s_andn2_saveexec_b64 s[16:17], s[16:17]
	s_cbranch_execz .LBB7_333
; %bb.330:                              ;   in Loop: Header=BB7_288 Depth=2
	v_mov_b32_e32 v2, 1
	v_cmp_eq_u32_e32 vcc, 1, v5
	s_and_saveexec_b64 s[22:23], vcc
	s_cbranch_execz .LBB7_332
; %bb.331:                              ;   in Loop: Header=BB7_288 Depth=2
	buffer_load_dword v2, off, s[0:3], s32 offset:124
	s_waitcnt vmcnt(0)
	v_and_b32_e32 v2, 0x80000001, v2
	v_cmp_ne_u32_e32 vcc, 1, v2
	v_cndmask_b32_e64 v2, 0, 1, vcc
.LBB7_332:                              ;   in Loop: Header=BB7_288 Depth=2
	s_or_b64 exec, exec, s[22:23]
.LBB7_333:                              ;   in Loop: Header=BB7_288 Depth=2
	s_or_b64 exec, exec, s[16:17]
	v_cmp_eq_u32_e32 vcc, 0, v5
	v_cmp_ne_u32_e64 s[22:23], 0, v5
	s_mov_b64 s[16:17], -1
	buffer_store_dword v2, off, s[0:3], s32 offset:140
	s_and_saveexec_b64 s[26:27], s[22:23]
	s_cbranch_execnz .LBB7_338
; %bb.334:                              ;   in Loop: Header=BB7_288 Depth=2
	s_or_b64 exec, exec, s[26:27]
	s_and_saveexec_b64 s[26:27], s[16:17]
	s_cbranch_execnz .LBB7_341
.LBB7_335:                              ;   in Loop: Header=BB7_288 Depth=2
	s_or_b64 exec, exec, s[26:27]
	s_mov_b64 s[16:17], 0
	s_and_saveexec_b64 s[26:27], vcc
	s_cbranch_execnz .LBB7_352
.LBB7_336:                              ;   in Loop: Header=BB7_288 Depth=2
	s_or_b64 exec, exec, s[26:27]
	s_and_saveexec_b64 s[26:27], s[22:23]
	s_xor_b64 s[22:23], exec, s[26:27]
	s_cbranch_execnz .LBB7_353
.LBB7_337:                              ;   in Loop: Header=BB7_288 Depth=2
	s_or_b64 exec, exec, s[22:23]
	s_mov_b64 s[26:27], 0
	s_and_saveexec_b64 s[22:23], s[16:17]
	s_cbranch_execnz .LBB7_356
	s_branch .LBB7_375
.LBB7_338:                              ;   in Loop: Header=BB7_288 Depth=2
	v_cmp_eq_u32_e64 s[16:17], 1, v5
	s_mov_b64 s[44:45], 0
	s_and_saveexec_b64 s[28:29], s[16:17]
	s_cbranch_execz .LBB7_340
; %bb.339:                              ;   in Loop: Header=BB7_288 Depth=2
	buffer_load_dword v3, off, s[0:3], s32 offset:124
	s_waitcnt vmcnt(0)
	v_and_b32_e32 v3, 1, v3
	v_cmp_eq_u32_e64 s[16:17], 0, v3
	s_and_b64 s[44:45], s[16:17], exec
.LBB7_340:                              ;   in Loop: Header=BB7_288 Depth=2
	s_or_b64 exec, exec, s[28:29]
	s_orn2_b64 s[16:17], s[44:45], exec
	s_or_b64 exec, exec, s[26:27]
	s_and_saveexec_b64 s[26:27], s[16:17]
	s_cbranch_execz .LBB7_335
.LBB7_341:                              ;   in Loop: Header=BB7_288 Depth=2
	buffer_load_dword v3, off, s[0:3], s32 offset:144
	buffer_load_dword v4, off, s[0:3], s32 offset:148
	s_waitcnt vmcnt(1)
	v_cmp_lt_i32_e64 s[16:17], 0, v3
	s_and_saveexec_b64 s[28:29], s[16:17]
	s_cbranch_execz .LBB7_351
; %bb.342:                              ;   in Loop: Header=BB7_288 Depth=2
	s_mov_b32 s61, 0
	s_mov_b64 s[44:45], 0
	s_mov_b32 s62, s34
	s_branch .LBB7_346
.LBB7_343:                              ;   in Loop: Header=BB7_346 Depth=3
	s_or_b64 exec, exec, s[58:59]
	v_add_u32_e32 v4, 1, v6
	v_mov_b32_e32 v6, s62
	buffer_store_dword v4, v6, s[0:3], 0 offen offset:128
.LBB7_344:                              ;   in Loop: Header=BB7_346 Depth=3
	s_or_b64 exec, exec, s[56:57]
	v_mov_b32_e32 v4, v5
.LBB7_345:                              ;   in Loop: Header=BB7_346 Depth=3
	s_or_b64 exec, exec, s[46:47]
	s_add_i32 s61, s61, 1
	s_add_i32 s62, s62, 4
	v_cmp_eq_u32_e64 s[16:17], s61, v3
	s_or_b64 s[44:45], s[16:17], s[44:45]
	s_andn2_b64 exec, exec, s[44:45]
	s_cbranch_execz .LBB7_350
.LBB7_346:                              ;   Parent Loop BB7_4 Depth=1
                                        ;     Parent Loop BB7_288 Depth=2
                                        ; =>    This Inner Loop Header: Depth=3
	v_mov_b32_e32 v5, s62
	buffer_load_dword v6, v5, s[0:3], 0 offen
	s_waitcnt vmcnt(0)
	v_add_u32_e32 v6, -1, v6
	v_cmp_eq_u32_e64 s[16:17], 0, v6
	buffer_store_dword v6, v5, s[0:3], 0 offen
	s_and_saveexec_b64 s[46:47], s[16:17]
	s_cbranch_execz .LBB7_345
; %bb.347:                              ;   in Loop: Header=BB7_346 Depth=3
	s_lshl_b32 s63, 1, s61
	v_xor_b32_e32 v5, s63, v4
	v_mov_b32_e32 v6, s63
	v_mov_b32_e32 v7, s62
	buffer_store_dword v5, off, s[0:3], s32 offset:148
	buffer_store_dword v6, v7, s[0:3], 0 offen
	v_and_b32_e32 v6, s63, v4
	v_cmp_ne_u32_e64 s[16:17], 0, v6
	s_and_saveexec_b64 s[56:57], s[16:17]
	s_cbranch_execz .LBB7_344
; %bb.348:                              ;   in Loop: Header=BB7_346 Depth=3
	v_mov_b32_e32 v7, s62
	buffer_load_dword v6, v7, s[0:3], 0 offen offset:128
	s_waitcnt vmcnt(0)
	v_ffbl_b32_e32 v8, v6
	v_cmp_eq_u32_e64 s[16:17], 0, v6
	v_cndmask_b32_e64 v8, v8, v3, s[16:17]
	v_add3_u32 v8, s63, -1, v8
	v_cmp_eq_u32_e64 s[16:17], 0, v8
	buffer_store_dword v8, v7, s[0:3], 0 offen
	s_and_saveexec_b64 s[58:59], s[16:17]
	s_cbranch_execz .LBB7_343
; %bb.349:                              ;   in Loop: Header=BB7_346 Depth=3
	v_mov_b32_e32 v5, s63
	v_mov_b32_e32 v7, s62
	buffer_store_dword v4, off, s[0:3], s32 offset:148
	buffer_store_dword v5, v7, s[0:3], 0 offen
	v_mov_b32_e32 v5, v4
	s_branch .LBB7_343
.LBB7_350:                              ;   in Loop: Header=BB7_288 Depth=2
	s_or_b64 exec, exec, s[44:45]
.LBB7_351:                              ;   in Loop: Header=BB7_288 Depth=2
	s_or_b64 exec, exec, s[28:29]
	s_waitcnt vmcnt(0)
	buffer_store_dword v4, off, s[0:3], s32 offset:124
	s_or_b64 exec, exec, s[26:27]
	s_mov_b64 s[16:17], 0
	s_and_saveexec_b64 s[26:27], vcc
	s_cbranch_execz .LBB7_336
.LBB7_352:                              ;   in Loop: Header=BB7_288 Depth=2
	buffer_load_dword v3, off, s[0:3], s32 offset:132
	buffer_load_dword v4, off, s[0:3], s32 offset:124
	s_andn2_b64 s[22:23], s[22:23], exec
	s_mov_b64 s[16:17], exec
	s_waitcnt vmcnt(1)
	v_lshrrev_b32_e32 v5, 31, v3
	v_add_u32_e32 v3, v3, v5
	v_ashrrev_i32_e32 v3, 1, v3
	s_waitcnt vmcnt(0)
	v_cmp_ne_u32_e32 vcc, v4, v3
	s_and_b64 s[28:29], vcc, exec
	s_or_b64 s[22:23], s[22:23], s[28:29]
	s_or_b64 exec, exec, s[26:27]
	s_and_saveexec_b64 s[26:27], s[22:23]
	s_xor_b64 s[22:23], exec, s[26:27]
	s_cbranch_execz .LBB7_337
.LBB7_353:                              ;   in Loop: Header=BB7_288 Depth=2
	buffer_load_dword v3, off, s[0:3], s32 offset:120
	v_cmp_lt_u32_e32 vcc, 1, v2
	buffer_store_dword v10, off, s[0:3], s32 offset:128
	s_waitcnt vmcnt(1)
	buffer_store_dword v3, off, s[0:3], s32 offset:112
	s_and_saveexec_b64 s[26:27], vcc
	s_cbranch_execz .LBB7_355
; %bb.354:                              ;   in Loop: Header=BB7_288 Depth=2
	buffer_load_dword v2, off, s[0:3], s32 offset:136
	v_sub_u32_e32 v7, 0, v3
	v_max_i32_e32 v7, v3, v7
	s_waitcnt vmcnt(0)
	v_lshlrev_b32_e32 v2, 1, v2
	v_sub_u32_e32 v4, 0, v2
	v_max_i32_e32 v4, v2, v4
	v_cvt_f32_u32_e32 v5, v4
	v_sub_u32_e32 v6, 0, v4
	v_xor_b32_e32 v2, v3, v2
	v_ashrrev_i32_e32 v2, 31, v2
	v_rcp_iflag_f32_e32 v5, v5
	v_mul_f32_e32 v5, 0x4f7ffffe, v5
	v_cvt_u32_f32_e32 v5, v5
	v_mul_lo_u32 v6, v6, v5
	v_mul_hi_u32 v6, v5, v6
	v_add_u32_e32 v5, v5, v6
	v_mul_hi_u32 v5, v7, v5
	v_mul_lo_u32 v6, v5, v4
	v_add_u32_e32 v3, 1, v5
	v_sub_u32_e32 v6, v7, v6
	v_cmp_ge_u32_e32 vcc, v6, v4
	v_cndmask_b32_e32 v3, v5, v3, vcc
	v_sub_u32_e32 v5, v6, v4
	v_cndmask_b32_e32 v5, v6, v5, vcc
	v_add_u32_e32 v6, 1, v3
	v_cmp_ge_u32_e32 vcc, v5, v4
	v_cndmask_b32_e32 v3, v3, v6, vcc
	v_xor_b32_e32 v3, v3, v2
	v_sub_u32_e32 v2, v3, v2
	buffer_store_dword v2, off, s[0:3], s32 offset:112
.LBB7_355:                              ;   in Loop: Header=BB7_288 Depth=2
	s_or_b64 exec, exec, s[26:27]
	s_andn2_b64 s[16:17], s[16:17], exec
	s_or_b64 exec, exec, s[22:23]
	s_mov_b64 s[26:27], 0
	s_and_saveexec_b64 s[22:23], s[16:17]
	s_cbranch_execz .LBB7_375
.LBB7_356:                              ;   in Loop: Header=BB7_288 Depth=2
	buffer_load_dword v2, off, s[0:3], s32 offset:88
	buffer_load_dword v4, off, s[0:3], s32 offset:72
	;; [unrolled: 1-line block ×3, first 2 shown]
	s_waitcnt vmcnt(2)
	v_ashrrev_i32_e32 v3, 31, v2
	v_add_co_u32_e32 v0, vcc, v0, v2
	v_addc_co_u32_e32 v1, vcc, v1, v3, vcc
	s_waitcnt vmcnt(0)
	v_cmp_le_u64_e32 vcc, v[4:5], v[0:1]
	buffer_store_dword v1, off, s[0:3], s32 offset:68
	buffer_store_dword v0, off, s[0:3], s32 offset:64
	s_and_saveexec_b64 s[16:17], vcc
	s_xor_b64 s[16:17], exec, s[16:17]
; %bb.357:                              ;   in Loop: Header=BB7_288 Depth=2
	ds_write_b32 v0, v62 offset:32
                                        ; implicit-def: $vgpr4_vgpr5
                                        ; implicit-def: $vgpr0
                                        ; implicit-def: $vgpr2_vgpr3
; %bb.358:                              ;   in Loop: Header=BB7_288 Depth=2
	s_or_saveexec_b64 s[26:27], s[16:17]
	s_mov_b64 s[16:17], -1
	s_xor_b64 exec, exec, s[26:27]
	s_cbranch_execz .LBB7_374
; %bb.359:                              ;   in Loop: Header=BB7_288 Depth=2
	buffer_load_dword v6, off, s[0:3], s32 offset:120
	buffer_load_dword v7, off, s[0:3], s32 offset:144
	v_sub_co_u32_e32 v4, vcc, v4, v0
	v_subb_co_u32_e32 v5, vcc, v5, v1, vcc
	v_cmp_lt_i64_e32 vcc, v[2:3], v[4:5]
	v_mov_b32_e32 v1, 0
	v_cndmask_b32_e32 v0, v4, v2, vcc
	buffer_store_dword v1, off, s[0:3], s32 offset:148
	buffer_store_dword v0, off, s[0:3], s32 offset:92
	s_waitcnt vmcnt(3)
	v_lshrrev_b32_e32 v0, 31, v6
	v_add_u32_e32 v2, -2, v6
	v_add_u32_e32 v0, v6, v0
	v_cmp_gt_u32_e32 vcc, -3, v2
	v_cndmask_b32_e64 v2, 1, 2, vcc
	v_ashrrev_i32_e32 v0, 1, v0
	s_waitcnt vmcnt(2)
	v_cmp_lt_i32_e64 s[16:17], 0, v7
	buffer_store_dword v2, off, s[0:3], s32 offset:140
	buffer_store_dword v0, off, s[0:3], s32 offset:136
	s_and_saveexec_b64 s[28:29], s[16:17]
	s_cbranch_execz .LBB7_371
; %bb.360:                              ;   in Loop: Header=BB7_288 Depth=2
	s_mov_b64 s[44:45], 0
	v_mov_b32_e32 v1, v7
	s_mov_b32 s46, s34
.LBB7_361:                              ;   Parent Loop BB7_4 Depth=1
                                        ;     Parent Loop BB7_288 Depth=2
                                        ; =>    This Inner Loop Header: Depth=3
	v_mov_b32_e32 v2, s46
	buffer_store_dword v1, v2, s[0:3], 0 offen
	v_add_u32_e32 v1, -1, v1
	s_add_i32 s46, s46, 4
	v_cmp_eq_u32_e64 s[16:17], 0, v1
	s_or_b64 s[44:45], s[16:17], s[44:45]
	buffer_store_dword v32, v2, s[0:3], 0 offen offset:128
	s_andn2_b64 exec, exec, s[44:45]
	s_cbranch_execnz .LBB7_361
; %bb.362:                              ;   in Loop: Header=BB7_288 Depth=2
	s_or_b64 exec, exec, s[44:45]
	v_mov_b32_e32 v1, 0
	s_mov_b64 s[44:45], 0
	s_mov_b32 s61, 0
	s_mov_b32 s62, s34
	s_branch .LBB7_366
.LBB7_363:                              ;   in Loop: Header=BB7_366 Depth=3
	s_or_b64 exec, exec, s[58:59]
	v_add_u32_e32 v1, 1, v3
	v_mov_b32_e32 v3, s62
	buffer_store_dword v1, v3, s[0:3], 0 offen offset:128
.LBB7_364:                              ;   in Loop: Header=BB7_366 Depth=3
	s_or_b64 exec, exec, s[56:57]
	v_mov_b32_e32 v1, v2
.LBB7_365:                              ;   in Loop: Header=BB7_366 Depth=3
	s_or_b64 exec, exec, s[46:47]
	s_add_i32 s61, s61, 1
	s_add_i32 s62, s62, 4
	v_cmp_eq_u32_e64 s[16:17], s61, v7
	s_or_b64 s[44:45], s[16:17], s[44:45]
	s_andn2_b64 exec, exec, s[44:45]
	s_cbranch_execz .LBB7_370
.LBB7_366:                              ;   Parent Loop BB7_4 Depth=1
                                        ;     Parent Loop BB7_288 Depth=2
                                        ; =>    This Inner Loop Header: Depth=3
	v_mov_b32_e32 v2, s62
	buffer_load_dword v3, v2, s[0:3], 0 offen
	s_waitcnt vmcnt(0)
	v_add_u32_e32 v3, -1, v3
	v_cmp_eq_u32_e64 s[16:17], 0, v3
	buffer_store_dword v3, v2, s[0:3], 0 offen
	s_and_saveexec_b64 s[46:47], s[16:17]
	s_cbranch_execz .LBB7_365
; %bb.367:                              ;   in Loop: Header=BB7_366 Depth=3
	s_lshl_b32 s63, 1, s61
	v_xor_b32_e32 v2, s63, v1
	v_mov_b32_e32 v3, s63
	v_mov_b32_e32 v4, s62
	buffer_store_dword v2, off, s[0:3], s32 offset:148
	buffer_store_dword v3, v4, s[0:3], 0 offen
	v_and_b32_e32 v3, s63, v1
	v_cmp_ne_u32_e64 s[16:17], 0, v3
	s_and_saveexec_b64 s[56:57], s[16:17]
	s_cbranch_execz .LBB7_364
; %bb.368:                              ;   in Loop: Header=BB7_366 Depth=3
	v_mov_b32_e32 v4, s62
	buffer_load_dword v3, v4, s[0:3], 0 offen offset:128
	s_waitcnt vmcnt(0)
	v_ffbl_b32_e32 v5, v3
	v_cmp_eq_u32_e64 s[16:17], 0, v3
	v_cndmask_b32_e64 v5, v5, v7, s[16:17]
	v_add3_u32 v5, s63, -1, v5
	v_cmp_eq_u32_e64 s[16:17], 0, v5
	buffer_store_dword v5, v4, s[0:3], 0 offen
	s_and_saveexec_b64 s[58:59], s[16:17]
	s_cbranch_execz .LBB7_363
; %bb.369:                              ;   in Loop: Header=BB7_366 Depth=3
	v_mov_b32_e32 v2, s63
	v_mov_b32_e32 v4, s62
	buffer_store_dword v1, off, s[0:3], s32 offset:148
	buffer_store_dword v2, v4, s[0:3], 0 offen
	v_mov_b32_e32 v2, v1
	s_branch .LBB7_363
.LBB7_370:                              ;   in Loop: Header=BB7_288 Depth=2
	s_or_b64 exec, exec, s[44:45]
.LBB7_371:                              ;   in Loop: Header=BB7_288 Depth=2
	s_or_b64 exec, exec, s[28:29]
	buffer_store_dword v1, off, s[0:3], s32 offset:124
	buffer_store_dword v10, off, s[0:3], s32 offset:128
	s_and_saveexec_b64 s[16:17], vcc
	s_cbranch_execz .LBB7_373
; %bb.372:                              ;   in Loop: Header=BB7_288 Depth=2
	v_ashrrev_i32_e32 v1, 31, v0
	v_lshl_add_u32 v0, v0, 1, v1
	v_xor_b32_e32 v0, v0, v1
	v_cvt_f32_u32_e32 v2, v0
	v_sub_u32_e32 v3, 0, v0
	v_sub_u32_e32 v4, 0, v6
	v_max_i32_e32 v4, v6, v4
	v_rcp_iflag_f32_e32 v2, v2
	v_ashrrev_i32_e32 v5, 31, v6
	v_xor_b32_e32 v1, v5, v1
	v_mul_f32_e32 v2, 0x4f7ffffe, v2
	v_cvt_u32_f32_e32 v2, v2
	v_mul_lo_u32 v3, v3, v2
	v_mul_hi_u32 v3, v2, v3
	v_add_u32_e32 v2, v2, v3
	v_mul_hi_u32 v2, v4, v2
	v_mul_lo_u32 v3, v2, v0
	v_add_u32_e32 v5, 1, v2
	v_sub_u32_e32 v3, v4, v3
	v_cmp_ge_u32_e32 vcc, v3, v0
	v_sub_u32_e32 v4, v3, v0
	v_cndmask_b32_e32 v2, v2, v5, vcc
	v_cndmask_b32_e32 v3, v3, v4, vcc
	v_add_u32_e32 v4, 1, v2
	v_cmp_ge_u32_e32 vcc, v3, v0
	v_cndmask_b32_e32 v0, v2, v4, vcc
	v_xor_b32_e32 v0, v0, v1
	v_sub_u32_e32 v6, v0, v1
.LBB7_373:                              ;   in Loop: Header=BB7_288 Depth=2
	s_or_b64 exec, exec, s[16:17]
	s_xor_b64 s[16:17], exec, -1
	buffer_store_dword v6, off, s[0:3], s32 offset:112
.LBB7_374:                              ;   in Loop: Header=BB7_288 Depth=2
	s_or_b64 exec, exec, s[26:27]
	s_and_b64 s[26:27], s[16:17], exec
.LBB7_375:                              ;   in Loop: Header=BB7_288 Depth=2
	s_or_b64 exec, exec, s[22:23]
                                        ; implicit-def: $vgpr5
                                        ; implicit-def: $vgpr0_vgpr1
                                        ; implicit-def: $vgpr7
                                        ; implicit-def: $vgpr2
                                        ; implicit-def: $vgpr6
.LBB7_376:                              ;   in Loop: Header=BB7_288 Depth=2
	s_andn2_saveexec_b64 s[20:21], s[20:21]
	s_cbranch_execz .LBB7_287
; %bb.377:                              ;   in Loop: Header=BB7_288 Depth=2
	buffer_load_dword v3, off, s[0:3], s32 offset:124
	v_cmp_eq_u32_e32 vcc, 0, v5
	s_waitcnt vmcnt(0)
	v_cmp_eq_u32_e64 s[16:17], 1, v3
	s_and_b64 s[22:23], vcc, s[16:17]
	s_and_saveexec_b64 s[16:17], s[22:23]
	s_cbranch_execz .LBB7_286
; %bb.378:                              ;   in Loop: Header=BB7_288 Depth=2
	buffer_load_dword v5, off, s[0:3], s32 offset:88
	buffer_load_dword v3, off, s[0:3], s32 offset:72
	;; [unrolled: 1-line block ×3, first 2 shown]
	s_waitcnt vmcnt(2)
	v_ashrrev_i32_e32 v8, 31, v5
	v_add_co_u32_e32 v0, vcc, v0, v5
	v_addc_co_u32_e32 v1, vcc, v1, v8, vcc
	s_waitcnt vmcnt(0)
	v_cmp_ge_u64_e32 vcc, v[0:1], v[3:4]
	s_and_b64 exec, exec, vcc
	s_cbranch_execz .LBB7_286
; %bb.379:                              ;   in Loop: Header=BB7_288 Depth=2
	v_sub_u32_e32 v0, 0, v2
	v_max_i32_e32 v0, v2, v0
	v_cvt_f32_u32_e32 v1, v0
	v_sub_u32_e32 v2, 0, v0
	v_add_u32_e32 v3, -1, v7
	v_sub_u32_e32 v4, 1, v7
	v_rcp_iflag_f32_e32 v1, v1
	v_max_i32_e32 v4, v3, v4
	v_mul_f32_e32 v1, 0x4f7ffffe, v1
	v_cvt_u32_f32_e32 v1, v1
	v_mul_lo_u32 v2, v2, v1
	v_mul_hi_u32 v2, v1, v2
	v_add_u32_e32 v1, v1, v2
	v_mul_hi_u32 v1, v4, v1
	v_ashrrev_i32_e32 v2, 31, v3
	v_mul_lo_u32 v1, v1, v0
	v_sub_u32_e32 v1, v4, v1
	v_sub_u32_e32 v4, v1, v0
	v_cmp_ge_u32_e32 vcc, v1, v0
	v_cndmask_b32_e32 v1, v1, v4, vcc
	v_sub_u32_e32 v4, v1, v0
	v_cmp_ge_u32_e32 vcc, v1, v0
	v_cndmask_b32_e32 v0, v1, v4, vcc
	v_xor_b32_e32 v0, v0, v2
	v_sub_u32_e32 v0, v2, v0
	v_add_u32_e32 v0, v3, v0
	v_cmp_ge_i32_e32 vcc, v6, v0
	s_and_b64 exec, exec, vcc
	s_cbranch_execz .LBB7_286
; %bb.380:                              ;   in Loop: Header=BB7_288 Depth=2
	ds_write_b32 v0, v32 offset:32
	s_branch .LBB7_286
.LBB7_381:
	buffer_load_dword v62, off, s[0:3], s32 ; 4-byte Folded Reload
	buffer_load_dword v61, off, s[0:3], s32 offset:4 ; 4-byte Folded Reload
	buffer_load_dword v60, off, s[0:3], s32 offset:8 ; 4-byte Folded Reload
	;; [unrolled: 1-line block ×14, first 2 shown]
	v_readlane_b32 s30, v63, 14
	v_readlane_b32 s31, v63, 15
	;; [unrolled: 1-line block ×16, first 2 shown]
	s_or_saveexec_b64 s[4:5], -1
	buffer_load_dword v63, off, s[0:3], s32 offset:408 ; 4-byte Folded Reload
	s_mov_b64 exec, s[4:5]
	s_waitcnt vmcnt(0)
	s_setpc_b64 s[30:31]
.Lfunc_end7:
	.size	_Z45ncclDevFunc_AllGather_PAT_SIMPLE_Sum_i8_0_0_1v, .Lfunc_end7-_Z45ncclDevFunc_AllGather_PAT_SIMPLE_Sum_i8_0_0_1v
                                        ; -- End function
	.set .L_Z45ncclDevFunc_AllGather_PAT_SIMPLE_Sum_i8_0_0_1v.num_vgpr, 64
	.set .L_Z45ncclDevFunc_AllGather_PAT_SIMPLE_Sum_i8_0_0_1v.num_agpr, 0
	.set .L_Z45ncclDevFunc_AllGather_PAT_SIMPLE_Sum_i8_0_0_1v.numbered_sgpr, 96
	.set .L_Z45ncclDevFunc_AllGather_PAT_SIMPLE_Sum_i8_0_0_1v.num_named_barrier, 0
	.set .L_Z45ncclDevFunc_AllGather_PAT_SIMPLE_Sum_i8_0_0_1v.private_seg_size, 416
	.set .L_Z45ncclDevFunc_AllGather_PAT_SIMPLE_Sum_i8_0_0_1v.uses_vcc, 1
	.set .L_Z45ncclDevFunc_AllGather_PAT_SIMPLE_Sum_i8_0_0_1v.uses_flat_scratch, 0
	.set .L_Z45ncclDevFunc_AllGather_PAT_SIMPLE_Sum_i8_0_0_1v.has_dyn_sized_stack, 0
	.set .L_Z45ncclDevFunc_AllGather_PAT_SIMPLE_Sum_i8_0_0_1v.has_recursion, 0
	.set .L_Z45ncclDevFunc_AllGather_PAT_SIMPLE_Sum_i8_0_0_1v.has_indirect_call, 0
	.section	.AMDGPU.csdata,"",@progbits
; Function info:
; codeLenInByte = 14912
; TotalNumSgprs: 100
; NumVgprs: 64
; ScratchSize: 416
; MemoryBound: 0
	.text
	.p2align	2                               ; -- Begin function _ZN12_GLOBAL__N_17runRingIa7FuncSumIaE7ProtoLLLi0ELi2ELi0ELb0EEEviiP15ncclDevWorkColl
	.type	_ZN12_GLOBAL__N_17runRingIa7FuncSumIaE7ProtoLLLi0ELi2ELi0ELb0EEEviiP15ncclDevWorkColl,@function
_ZN12_GLOBAL__N_17runRingIa7FuncSumIaE7ProtoLLLi0ELi2ELi0ELb0EEEviiP15ncclDevWorkColl: ; @_ZN12_GLOBAL__N_17runRingIa7FuncSumIaE7ProtoLLLi0ELi2ELi0ELb0EEEviiP15ncclDevWorkColl
; %bb.0:
	s_waitcnt vmcnt(0) expcnt(0) lgkmcnt(0)
	buffer_store_dword v40, off, s[0:3], s32 offset:60 ; 4-byte Folded Spill
	buffer_store_dword v41, off, s[0:3], s32 offset:56 ; 4-byte Folded Spill
	;; [unrolled: 1-line block ×15, first 2 shown]
	buffer_store_dword v63, off, s[0:3], s32 ; 4-byte Folded Spill
	s_trap 2
	flat_load_dword v7, v[2:3]
	flat_load_dwordx4 v[26:29], v[2:3] offset:72
	flat_load_dwordx2 v[13:14], v[2:3] offset:88
	v_mov_b32_e32 v4, v0
	ds_read_b32 v0, v0
                                        ; implicit-def: $vgpr18_vgpr19
	s_waitcnt lgkmcnt(0)
	ds_read_b64 v[23:24], v0
	v_readfirstlane_b32 s90, v0
	s_waitcnt vmcnt(0)
	v_not_b32_sdwa v6, v7 dst_sel:DWORD dst_unused:UNUSED_PAD src0_sel:BYTE_0
	v_add_u32_sdwa v5, v7, v6 dst_sel:DWORD dst_unused:UNUSED_PAD src0_sel:BYTE_1 src1_sel:DWORD
	v_ashrrev_i32_e32 v8, 31, v5
	v_mul_lo_u32 v9, v29, v5
	v_mad_u64_u32 v[15:16], s[4:5], v28, v5, 0
	v_mul_lo_u32 v5, v28, v8
	v_cmp_ne_u32_sdwa s[4:5], v0, v7 src0_sel:DWORD src1_sel:BYTE_0
	v_add3_u32 v5, v16, v5, v9
                                        ; implicit-def: $vgpr8_vgpr9
                                        ; kill: killed $vgpr8_vgpr9
	s_and_saveexec_b64 s[6:7], s[4:5]
	s_xor_b64 s[4:5], exec, s[6:7]
	s_cbranch_execz .LBB8_6
; %bb.1:
	v_cmp_ne_u32_sdwa s[6:7], v0, v7 src0_sel:DWORD src1_sel:BYTE_1
                                        ; implicit-def: $vgpr18_vgpr19
                                        ; implicit-def: $vgpr7_vgpr8
                                        ; kill: killed $vgpr7_vgpr8
	s_and_saveexec_b64 s[10:11], s[6:7]
	s_xor_b64 s[6:7], exec, s[10:11]
	s_cbranch_execz .LBB8_3
; %bb.2:
	flat_load_dwordx2 v[7:8], v[2:3] offset:96
	v_add_u32_e32 v0, v0, v6
	v_ashrrev_i32_e32 v6, 31, v0
	v_mul_lo_u32 v6, v28, v6
	v_mul_lo_u32 v9, v29, v0
	v_mad_u64_u32 v[10:11], s[10:11], v28, v0, v[26:27]
	v_add3_u32 v11, v9, v11, v6
	buffer_store_dword v10, off, s[0:3], s32 offset:84 ; 4-byte Folded Spill
	s_nop 0
	buffer_store_dword v11, off, s[0:3], s32 offset:88 ; 4-byte Folded Spill
	s_waitcnt vmcnt(0) lgkmcnt(0)
	v_lshrrev_b64 v[18:19], 21, v[7:8]
.LBB8_3:
	s_andn2_saveexec_b64 s[6:7], s[6:7]
	s_cbranch_execz .LBB8_5
; %bb.4:
	flat_load_dword v0, v[2:3] offset:100
	v_add_co_u32_e32 v6, vcc, v15, v26
	v_mov_b32_e32 v29, v14
	v_addc_co_u32_e32 v7, vcc, v5, v27, vcc
	v_mov_b32_e32 v28, v13
	buffer_store_dword v6, off, s[0:3], s32 offset:84 ; 4-byte Folded Spill
	s_nop 0
	buffer_store_dword v7, off, s[0:3], s32 offset:88 ; 4-byte Folded Spill
	s_waitcnt vmcnt(0) lgkmcnt(0)
	v_lshrrev_b32_e32 v18, 10, v0
.LBB8_5:
	s_or_b64 exec, exec, s[6:7]
.LBB8_6:
	s_andn2_saveexec_b64 s[4:5], s[4:5]
	s_cbranch_execz .LBB8_8
; %bb.7:
	flat_load_dwordx2 v[18:19], v[2:3] offset:96
	v_mov_b32_e32 v6, 0
	v_mov_b32_e32 v29, v27
	;; [unrolled: 1-line block ×4, first 2 shown]
	buffer_store_dword v6, off, s[0:3], s32 offset:84 ; 4-byte Folded Spill
	s_nop 0
	buffer_store_dword v7, off, s[0:3], s32 offset:88 ; 4-byte Folded Spill
.LBB8_8:
	s_or_b64 exec, exec, s[4:5]
	flat_load_dwordx4 v[40:43], v[2:3] offset:16
	v_add_co_u32_e32 v0, vcc, v13, v26
	v_addc_co_u32_e32 v6, vcc, v14, v27, vcc
	v_add_co_u32_e32 v0, vcc, v0, v15
	v_addc_co_u32_e32 v27, vcc, v6, v5, vcc
	v_cmp_ge_i32_e32 vcc, v4, v1
	s_and_saveexec_b64 s[4:5], vcc
	s_xor_b64 s[6:7], exec, s[4:5]
	s_cbranch_execz .LBB8_33
; %bb.9:
	s_waitcnt lgkmcnt(0)
	flat_load_dword v2, v[23:24]
	s_waitcnt vmcnt(0) lgkmcnt(0)
	v_ashrrev_i32_e32 v5, 31, v2
	v_mul_lo_u32 v6, v27, v2
	v_mad_u64_u32 v[2:3], s[4:5], v0, v2, 0
	v_mul_lo_u32 v0, v0, v5
	v_add_co_u32_e32 v5, vcc, v40, v2
	v_add3_u32 v3, v3, v0, v6
	v_addc_co_u32_e32 v6, vcc, v41, v3, vcc
	v_cmp_ne_u64_e32 vcc, v[42:43], v[5:6]
	s_and_saveexec_b64 s[10:11], vcc
	s_cbranch_execz .LBB8_32
; %bb.10:
	buffer_load_dword v5, off, s[0:3], s32 offset:84 ; 4-byte Folded Reload
	buffer_load_dword v6, off, s[0:3], s32 offset:88 ; 4-byte Folded Reload
	v_sub_u32_e32 v12, v4, v1
	s_mov_b64 s[14:15], 0
	s_mov_b64 s[16:17], 0
	s_waitcnt vmcnt(1)
	v_add_co_u32_e32 v13, vcc, v42, v5
	s_waitcnt vmcnt(0)
	v_addc_co_u32_e32 v14, vcc, v43, v6, vcc
	v_add_co_u32_e32 v0, vcc, v40, v5
	v_addc_co_u32_e32 v5, vcc, v41, v6, vcc
	v_add_co_u32_e32 v15, vcc, v0, v2
	v_ashrrev_i16_e32 v0, 15, v12
	v_lshrrev_b16_e32 v0, 10, v0
	v_add_u16_e32 v1, v12, v0
	v_and_b32_e32 v0, 0xffffffc0, v1
	v_addc_co_u32_e32 v16, vcc, v5, v3, vcc
	v_sub_u16_e32 v0, v12, v0
	v_cmp_gt_i16_e32 vcc, 1, v0
	s_and_saveexec_b64 s[4:5], vcc
; %bb.11:
	v_or_b32_e32 v2, v13, v15
	v_and_b32_e32 v2, 15, v2
	v_cmp_ne_u32_e32 vcc, 0, v2
	s_and_b64 s[16:17], vcc, exec
; %bb.12:
	s_or_b64 exec, exec, s[4:5]
	v_ashrrev_i16_e32 v17, 6, v1
	v_cndmask_b32_e64 v1, 0, 1, s[16:17]
	v_cmp_ne_u32_e32 vcc, 0, v1
	s_cbranch_vccz .LBB8_14
; %bb.13:
	v_mov_b32_e32 v4, 0
	s_mov_b64 s[18:19], -1
	v_mov_b32_e32 v5, 0
	s_mov_b64 s[4:5], 0
                                        ; implicit-def: $vgpr2_vgpr3
                                        ; implicit-def: $vgpr0_vgpr1
                                        ; implicit-def: $vgpr18
	s_and_saveexec_b64 s[16:17], s[18:19]
	s_cbranch_execnz .LBB8_23
	s_branch .LBB8_26
.LBB8_14:
	v_bfe_i32 v18, v0, 0, 16
	v_ashrrev_i32_e32 v0, 31, v29
	v_lshrrev_b32_e32 v0, 20, v0
	v_add_co_u32_e32 v0, vcc, v28, v0
	v_addc_co_u32_e32 v1, vcc, 0, v29, vcc
	v_ashrrev_i64 v[9:10], 12, v[0:1]
	v_bfe_i32 v0, v17, 0, 16
	v_ashrrev_i32_e32 v1, 31, v0
	v_sub_co_u32_e32 v11, vcc, v9, v0
	v_subb_co_u32_e32 v12, vcc, v10, v1, vcc
	v_cmp_gt_i64_e32 vcc, 1, v[11:12]
	v_mov_b32_e32 v4, 0
	s_mov_b64 s[18:19], 0
	s_mov_b64 s[4:5], -1
	v_mov_b32_e32 v5, 0
                                        ; implicit-def: $vgpr2_vgpr3
                                        ; implicit-def: $vgpr0_vgpr1
                                        ; implicit-def: $vgpr12
	s_and_saveexec_b64 s[16:17], vcc
	s_cbranch_execz .LBB8_22
; %bb.15:
	v_lshlrev_b64 v[0:1], 12, v[9:10]
	v_mov_b32_e32 v4, 0
	v_cmp_ne_u64_e32 vcc, v[28:29], v[0:1]
	v_mov_b32_e32 v5, 0
	s_mov_b64 s[20:21], 0
                                        ; implicit-def: $vgpr2_vgpr3
                                        ; implicit-def: $vgpr9_vgpr10
                                        ; implicit-def: $vgpr12
	s_and_saveexec_b64 s[14:15], vcc
	s_cbranch_execz .LBB8_21
; %bb.16:
	v_sub_co_u32_e32 v6, vcc, v28, v0
	v_subb_co_u32_e32 v7, vcc, v29, v1, vcc
	v_ashrrev_i32_e32 v2, 31, v7
	v_lshrrev_b32_e32 v2, 22, v2
	v_add_co_u32_e32 v4, vcc, v6, v2
	v_addc_co_u32_e32 v5, vcc, 0, v7, vcc
	v_ashrrev_i64 v[8:9], 10, v[4:5]
	v_and_b32_e32 v2, 0xfffffc00, v4
	v_sub_co_u32_e32 v9, vcc, v6, v2
	v_subb_co_u32_e32 v10, vcc, v7, v5, vcc
	v_cmp_lt_i64_e32 vcc, 15, v[9:10]
	v_add_co_u32_e64 v4, s[4:5], v2, v0
	v_mov_b32_e32 v3, 0
	v_addc_co_u32_e64 v5, s[4:5], v5, v1, s[4:5]
	s_and_saveexec_b64 s[4:5], vcc
; %bb.17:
	v_add_co_u32_e32 v8, vcc, 1, v8
	v_and_b32_e32 v2, 15, v28
	v_sub_co_u32_e32 v9, vcc, v9, v2
	v_subbrev_co_u32_e32 v10, vcc, 0, v10, vcc
	v_add_co_u32_e32 v4, vcc, v9, v4
	v_addc_co_u32_e32 v5, vcc, v10, v5, vcc
	v_mov_b32_e32 v10, v3
	v_mov_b32_e32 v9, v2
; %bb.18:
	s_or_b64 exec, exec, s[4:5]
	v_lshlrev_b32_e32 v2, 6, v11
	v_sub_u32_e32 v2, v18, v2
	v_ashrrev_i32_e32 v3, 31, v2
	v_lshrrev_b32_e32 v3, 26, v3
	v_add_u32_e32 v3, v2, v3
	v_ashrrev_i32_e32 v11, 6, v3
	v_and_b32_e32 v3, 0xffffffc0, v3
	v_sub_u32_e32 v19, v2, v3
	v_lshlrev_b32_e32 v2, 4, v19
	v_lshl_add_u32 v2, v11, 10, v2
	v_ashrrev_i32_e32 v3, 31, v2
	v_sub_co_u32_e32 v6, vcc, v6, v2
	v_subb_co_u32_e32 v7, vcc, v7, v3, vcc
	v_cmp_gt_i64_e32 vcc, 16, v[6:7]
	s_mov_b64 s[4:5], 0
	s_mov_b64 s[18:19], -1
                                        ; implicit-def: $vgpr12
	s_and_saveexec_b64 s[20:21], vcc
; %bb.19:
	v_cmp_ne_u64_e32 vcc, 0, v[9:10]
	v_sub_u32_e32 v6, v11, v8
	v_lshl_add_u32 v12, v6, 6, v19
	s_xor_b64 s[18:19], exec, -1
	s_and_b64 s[4:5], vcc, exec
; %bb.20:
	s_or_b64 exec, exec, s[20:21]
	s_and_b64 s[20:21], s[18:19], exec
	s_and_b64 s[18:19], s[4:5], exec
.LBB8_21:
	s_or_b64 exec, exec, s[14:15]
	v_mov_b32_e32 v29, v10
	s_xor_b64 s[4:5], exec, -1
	s_and_b64 s[14:15], s[20:21], exec
	s_and_b64 s[18:19], s[18:19], exec
	v_mov_b32_e32 v28, v9
.LBB8_22:
	s_or_b64 exec, exec, s[16:17]
	s_and_saveexec_b64 s[16:17], s[18:19]
	s_cbranch_execz .LBB8_26
.LBB8_23:
	v_ashrrev_i32_e32 v7, 31, v29
	v_ashrrev_i32_e32 v6, 31, v12
	v_lshrrev_b32_e32 v7, 22, v7
	v_lshrrev_b32_e32 v6, 26, v6
	v_add_co_u32_e32 v7, vcc, v28, v7
	v_add_u32_e32 v6, v12, v6
	v_addc_co_u32_e32 v8, vcc, 0, v29, vcc
	v_ashrrev_i32_e32 v6, 6, v6
	v_ashrrev_i64 v[8:9], 10, v[7:8]
	v_ashrrev_i32_e32 v7, 31, v6
	v_cmp_gt_i64_e32 vcc, v[8:9], v[6:7]
	s_and_b64 exec, exec, vcc
	s_cbranch_execz .LBB8_26
; %bb.24:
	v_lshlrev_b32_e32 v7, 6, v6
	v_sub_u32_e32 v7, v12, v7
	v_lshl_add_u32 v6, v6, 10, v7
	v_ashrrev_i32_e32 v7, 31, v6
	v_add_co_u32_e32 v6, vcc, v4, v6
	v_addc_co_u32_e32 v7, vcc, v5, v7, vcc
	v_add_co_u32_e32 v4, vcc, v6, v15
	v_addc_co_u32_e32 v5, vcc, v7, v16, vcc
	;; [unrolled: 2-line block ×3, first 2 shown]
	s_and_b64 vcc, exec, -1
.LBB8_25:                               ; =>This Inner Loop Header: Depth=1
	flat_load_ubyte v8, v[6:7] glc slc
	flat_load_ubyte v9, v[6:7] offset:64 glc slc
	flat_load_ubyte v10, v[6:7] offset:128 glc slc
	;; [unrolled: 1-line block ×15, first 2 shown]
	s_waitcnt vmcnt(0) lgkmcnt(0)
	flat_store_byte v[4:5], v8 glc slc
	flat_store_byte v[4:5], v9 offset:64 glc slc
	flat_store_byte v[4:5], v10 offset:128 glc slc
	;; [unrolled: 1-line block ×15, first 2 shown]
	s_mov_b64 vcc, vcc
	s_cbranch_vccnz .LBB8_25
.LBB8_26:
	s_or_b64 exec, exec, s[16:17]
	s_and_saveexec_b64 s[16:17], s[14:15]
	s_cbranch_execz .LBB8_29
; %bb.27:
	v_add_co_u32_e32 v2, vcc, v0, v2
	v_addc_co_u32_e32 v3, vcc, v1, v3, vcc
	v_add_co_u32_e32 v0, vcc, v2, v15
	v_addc_co_u32_e32 v1, vcc, v3, v16, vcc
	;; [unrolled: 2-line block ×3, first 2 shown]
	s_and_b64 vcc, exec, 0
.LBB8_28:                               ; =>This Inner Loop Header: Depth=1
	global_load_dwordx4 v[4:7], v[2:3], off glc slc
	s_waitcnt vmcnt(0)
	global_store_dwordx4 v[0:1], v[4:7], off glc slc
	s_mov_b64 vcc, vcc
	s_cbranch_vccz .LBB8_28
.LBB8_29:
	s_or_b64 exec, exec, s[16:17]
	s_and_saveexec_b64 s[14:15], s[4:5]
	s_xor_b64 s[14:15], exec, s[14:15]
	s_cbranch_execz .LBB8_32
; %bb.30:
	v_bfe_i32 v0, v17, 0, 16
	v_lshlrev_b32_e32 v1, 4, v18
	v_lshl_add_u32 v2, v0, 12, v1
	v_ashrrev_i32_e32 v3, 31, v2
	v_add_co_u32_e32 v0, vcc, v15, v2
	v_addc_co_u32_e32 v1, vcc, v16, v3, vcc
	v_add_co_u32_e32 v2, vcc, v13, v2
	v_addc_co_u32_e32 v3, vcc, v14, v3, vcc
	s_and_b64 vcc, exec, 0
.LBB8_31:                               ; =>This Inner Loop Header: Depth=1
	global_load_dwordx4 v[4:7], v[2:3], off glc slc
	global_load_dwordx4 v[8:11], v[2:3], off offset:1024 glc slc
	global_load_dwordx4 v[12:15], v[2:3], off offset:2048 glc slc
	;; [unrolled: 1-line block ×3, first 2 shown]
	s_waitcnt vmcnt(0)
	global_store_dwordx4 v[0:1], v[4:7], off glc slc
	global_store_dwordx4 v[0:1], v[8:11], off offset:1024 glc slc
	global_store_dwordx4 v[0:1], v[12:15], off offset:2048 glc slc
	;; [unrolled: 1-line block ×3, first 2 shown]
	s_mov_b64 vcc, vcc
	s_cbranch_vccz .LBB8_31
.LBB8_32:
	s_or_b64 exec, exec, s[10:11]
                                        ; implicit-def: $vgpr0_vgpr1
                                        ; implicit-def: $vgpr28_vgpr29
                                        ; kill: killed $vgpr0_vgpr1
                                        ; implicit-def: $vgpr18_vgpr19
                                        ; implicit-def: $vgpr4
                                        ; implicit-def: $vgpr23_vgpr24
                                        ; implicit-def: $vgpr40_vgpr41_vgpr42_vgpr43
                                        ; implicit-def: $vgpr31
                                        ; implicit-def: $vgpr2_vgpr3
                                        ; implicit-def: $vgpr27
                                        ; implicit-def: $vgpr1
                                        ; implicit-def: $vgpr0
.LBB8_33:
	s_andn2_saveexec_b64 s[20:21], s[6:7]
	s_cbranch_execz .LBB8_340
; %bb.34:
	flat_load_ushort v7, v[2:3] offset:8
	flat_load_dword v6, v[2:3] offset:4
	s_load_dword s4, s[8:9], 0x0
	v_mov_b32_e32 v20, 0
	v_ashrrev_i32_e32 v5, 31, v4
	v_mov_b32_e32 v10, 0
	s_mov_b32 s6, 0
	s_waitcnt lgkmcnt(0)
	s_cmp_lt_u32 s12, s4
	s_cselect_b32 s4, 12, 18
	s_add_u32 s4, s8, s4
	s_addc_u32 s5, s9, 0
	global_load_ushort v2, v20, s[4:5]
	v_mov_b32_e32 v11, 0
	s_waitcnt vmcnt(0)
	buffer_store_dword v2, off, s[0:3], s32 offset:160 ; 4-byte Folded Spill
	s_trap 2
	ds_read_b32 v19, v0
	v_lshrrev_b32_e32 v2, 26, v5
	v_add_u32_e32 v8, v4, v2
	v_lshrrev_b64 v[2:3], 31, v[6:7]
	v_and_b32_e32 v7, 3, v2
	v_and_b32_e32 v2, 0xffffffc0, v8
	v_sub_u32_e32 v6, v4, v2
	s_waitcnt lgkmcnt(0)
	v_cmp_gt_i32_e32 vcc, 0, v19
	v_cmp_eq_u32_e64 s[4:5], 0, v6
	s_cbranch_vccnz .LBB8_36
; %bb.35:
	s_trap 2
	ds_read_b64 v[2:3], v0
	v_lshlrev_b64 v[8:9], 3, v[19:20]
	s_movk_i32 s6, 0xa8
	s_waitcnt lgkmcnt(0)
	v_add_co_u32_e32 v2, vcc, v2, v8
	v_addc_co_u32_e32 v3, vcc, v3, v9, vcc
	flat_load_dwordx2 v[2:3], v[2:3]
	v_and_b32_e32 v8, 0xffff, v7
	s_waitcnt vmcnt(0) lgkmcnt(0)
	v_mad_u64_u32 v[2:3], s[6:7], v8, s6, v[2:3]
	flat_load_dwordx2 v[32:33], v[2:3] offset:504
	flat_load_dwordx2 v[34:35], v[2:3] offset:608
	v_add_co_u32_e32 v20, vcc, 0x1f8, v2
	v_addc_co_u32_e32 v21, vcc, 0, v3, vcc
	v_cndmask_b32_e64 v3, 0, v21, s[4:5]
	v_cndmask_b32_e64 v2, 0, v20, s[4:5]
	s_mov_b32 s6, 1
	s_branch .LBB8_37
.LBB8_36:
	v_mov_b32_e32 v20, 0
	v_mov_b32_e32 v2, 0
	;; [unrolled: 1-line block ×4, first 2 shown]
                                        ; implicit-def: $vgpr34_vgpr35
                                        ; implicit-def: $vgpr32_vgpr33
.LBB8_37:
	s_trap 2
	ds_read_b32 v13, v0
	s_waitcnt lgkmcnt(0)
	v_cmp_gt_i32_e32 vcc, 0, v13
	s_cbranch_vccnz .LBB8_39
; %bb.38:
	s_trap 2
	ds_read_b64 v[8:9], v0
	v_mov_b32_e32 v14, 0
	v_lshlrev_b64 v[10:11], 3, v[13:14]
	v_and_b32_e32 v7, 0xffff, v7
	s_movk_i32 s4, 0xa8
	s_waitcnt lgkmcnt(0)
	v_add_co_u32_e32 v8, vcc, v8, v10
	v_addc_co_u32_e32 v9, vcc, v9, v11, vcc
	flat_load_dwordx2 v[8:9], v[8:9]
	v_cmp_eq_u32_e32 vcc, 0, v6
	s_waitcnt vmcnt(0) lgkmcnt(0)
	v_mad_u64_u32 v[10:11], s[4:5], v7, s4, v[8:9]
	flat_load_dwordx2 v[36:37], v[10:11]
	flat_load_dwordx2 v[46:47], v[10:11] offset:104
	v_cndmask_b32_e32 v16, 0, v11, vcc
	v_cndmask_b32_e32 v15, 0, v10, vcc
	s_branch .LBB8_40
.LBB8_39:
	v_mov_b32_e32 v15, 0
	v_mov_b32_e32 v16, 0
                                        ; implicit-def: $vgpr46_vgpr47
                                        ; implicit-def: $vgpr36_vgpr37
.LBB8_40:
	v_subrev_u32_e32 v7, 64, v1
	v_cmp_ge_i32_e32 vcc, v4, v7
	v_cmp_gt_i32_e64 s[4:5], s6, v6
	v_mov_b32_e32 v13, 0
	v_mov_b32_e32 v48, 0
	v_mov_b32_e32 v14, 0
	v_mov_b32_e32 v49, 0
	s_and_b64 s[22:23], vcc, s[4:5]
                                        ; implicit-def: $vgpr38_vgpr39
	s_and_saveexec_b64 s[4:5], s[22:23]
	s_cbranch_execz .LBB8_42
; %bb.41:
	flat_load_dwordx2 v[48:49], v[2:3] offset:56
	flat_load_dwordx2 v[38:39], v[2:3] offset:104
.LBB8_42:
	s_or_b64 exec, exec, s[4:5]
	v_mov_b32_e32 v50, 0
	v_mov_b32_e32 v51, 0
	v_cmp_gt_i32_e64 s[4:5], s6, v4
                                        ; implicit-def: $vgpr52_vgpr53
	s_and_saveexec_b64 s[6:7], s[4:5]
	s_cbranch_execz .LBB8_44
; %bb.43:
	flat_load_dwordx2 v[50:51], v[15:16] offset:56
	s_waitcnt vmcnt(0) lgkmcnt(0)
	flat_load_dwordx2 v[52:53], v[50:51] glc
	s_waitcnt vmcnt(0)
	flat_load_dwordx4 v[13:16], v[15:16] offset:96
.LBB8_44:
	s_or_b64 exec, exec, s[6:7]
	v_mov_b32_e32 v2, 0
	v_cmp_ne_u64_e32 vcc, 0, v[28:29]
	v_mov_b32_e32 v3, 0
	s_and_saveexec_b64 s[24:25], vcc
	s_cbranch_execnz .LBB8_48
; %bb.45:
	s_or_b64 exec, exec, s[24:25]
	s_and_saveexec_b64 s[6:7], s[22:23]
	s_cbranch_execnz .LBB8_320
.LBB8_46:
	s_or_b64 exec, exec, s[6:7]
	s_and_saveexec_b64 s[6:7], s[4:5]
	s_cbranch_execnz .LBB8_321
.LBB8_47:
	s_or_b64 exec, exec, s[6:7]
	v_cmp_ne_u32_e32 vcc, 64, v1
	s_and_saveexec_b64 s[4:5], vcc
	s_cbranch_execnz .LBB8_322
	s_branch .LBB8_339
.LBB8_48:
	v_cvt_f64_u32_e32 v[2:3], 0
	v_lshlrev_b32_e32 v6, 4, v18
	v_and_b32_e32 v6, 0x1fffff0, v6
	buffer_store_dword v20, off, s[0:3], s32 offset:176 ; 4-byte Folded Spill
	s_nop 0
	buffer_store_dword v21, off, s[0:3], s32 offset:180 ; 4-byte Folded Spill
	buffer_store_dword v10, off, s[0:3], s32 offset:168 ; 4-byte Folded Spill
	s_nop 0
	buffer_store_dword v11, off, s[0:3], s32 offset:172 ; 4-byte Folded Spill
	v_ldexp_f64 v[2:3], v[2:3], 32
	buffer_store_dword v6, off, s[0:3], s32 offset:124 ; 4-byte Folded Spill
	v_cvt_f64_u32_e32 v[6:7], v6
	v_ashrrev_i32_e32 v8, 31, v19
	v_lshrrev_b32_e32 v8, 29, v8
	v_add_u32_e32 v8, v19, v8
	v_ashrrev_i32_e32 v54, 7, v8
	v_and_b32_e32 v9, 0x1fffff, v18
	v_add_f64 v[2:3], v[2:3], v[6:7]
	v_lshlrev_b32_e32 v6, 3, v4
	v_ashrrev_i32_e32 v8, 31, v6
	v_mov_b32_e32 v17, 0
	v_cmp_ne_u64_e64 s[6:7], 0, v[50:51]
	s_waitcnt vmcnt(0) lgkmcnt(0)
	v_cmp_ne_u64_e64 s[8:9], 0, v[13:14]
	s_cmp_lt_i32 s90, 3
	v_cmp_ne_u64_e64 s[14:15], 0, v[48:49]
	buffer_store_dword v2, off, s[0:3], s32 offset:128 ; 4-byte Folded Spill
	s_nop 0
	buffer_store_dword v3, off, s[0:3], s32 offset:132 ; 4-byte Folded Spill
	buffer_load_dword v2, off, s[0:3], s32 offset:160 ; 4-byte Folded Reload
	s_mov_b64 s[26:27], 0
	buffer_store_dword v31, off, s[0:3], s32 offset:164 ; 4-byte Folded Spill
	v_cmp_ne_u32_e64 s[10:11], 64, v1
	s_cselect_b64 s[40:41], -1, 0
	s_add_i32 s91, s90, -2
	s_mov_b64 s[42:43], 0x7ffffff8
	s_waitcnt vmcnt(1)
	v_cmp_ne_u32_sdwa s[28:29], v1, v2 src0_sel:DWORD src1_sel:WORD_0
	v_and_b32_e32 v2, 63, v31
	v_cmp_eq_u32_e64 s[12:13], 0, v2
	v_lshrrev_b32_e32 v2, 6, v1
	buffer_store_dword v2, off, s[0:3], s32 offset:68 ; 4-byte Folded Spill
	v_add_co_u32_e32 v2, vcc, v40, v6
	buffer_store_dword v2, off, s[0:3], s32 offset:144 ; 4-byte Folded Spill
	v_addc_co_u32_e32 v2, vcc, v41, v8, vcc
	buffer_store_dword v2, off, s[0:3], s32 offset:148 ; 4-byte Folded Spill
	buffer_load_dword v2, off, s[0:3], s32 offset:84 ; 4-byte Folded Reload
	s_nop 0
	buffer_load_dword v3, off, s[0:3], s32 offset:88 ; 4-byte Folded Reload
	v_lshlrev_b32_e32 v31, 3, v1
	buffer_store_dword v8, off, s[0:3], s32 offset:140 ; 4-byte Folded Spill
	s_waitcnt vmcnt(2)
	v_add_co_u32_e32 v7, vcc, v2, v6
	s_waitcnt vmcnt(1)
	v_addc_co_u32_e32 v8, vcc, v3, v8, vcc
	v_lshlrev_b64 v[2:3], 4, v[4:5]
	v_add_co_u32_e32 v2, vcc, v36, v2
	buffer_store_dword v2, off, s[0:3], s32 offset:152 ; 4-byte Folded Spill
	v_addc_co_u32_e32 v2, vcc, v37, v3, vcc
	v_add_co_u32_e32 v5, vcc, v7, v42
	buffer_store_dword v2, off, s[0:3], s32 offset:156 ; 4-byte Folded Spill
	v_addc_co_u32_e32 v6, vcc, v8, v43, vcc
	v_lshlrev_b32_e32 v2, 7, v9
	buffer_store_dword v2, off, s[0:3], s32 offset:136 ; 4-byte Folded Spill
	v_add_co_u32_e32 v2, vcc, v40, v7
	buffer_store_dword v2, off, s[0:3], s32 offset:76 ; 4-byte Folded Spill
	buffer_store_dword v40, off, s[0:3], s32 offset:108 ; 4-byte Folded Spill
	s_nop 0
	buffer_store_dword v41, off, s[0:3], s32 offset:112 ; 4-byte Folded Spill
	buffer_store_dword v42, off, s[0:3], s32 offset:116 ; 4-byte Folded Spill
	;; [unrolled: 1-line block ×3, first 2 shown]
	v_lshlrev_b32_e32 v3, 3, v5
	buffer_store_dword v3, off, s[0:3], s32 offset:72 ; 4-byte Folded Spill
	v_mov_b32_e32 v42, 0
	v_mov_b32_e32 v9, v28
	;; [unrolled: 1-line block ×4, first 2 shown]
	v_addc_co_u32_e32 v2, vcc, v41, v8, vcc
	buffer_store_dword v2, off, s[0:3], s32 offset:80 ; 4-byte Folded Spill
	v_mov_b32_e32 v2, v17
	v_lshlrev_b64 v[40:41], 4, v[1:2]
	v_mov_b32_e32 v2, 0
	v_mov_b32_e32 v3, 0
	;; [unrolled: 1-line block ×3, first 2 shown]
	buffer_store_dword v7, off, s[0:3], s32 offset:92 ; 4-byte Folded Spill
	s_nop 0
	buffer_store_dword v8, off, s[0:3], s32 offset:96 ; 4-byte Folded Spill
	buffer_store_dword v9, off, s[0:3], s32 offset:100 ; 4-byte Folded Spill
	;; [unrolled: 1-line block ×3, first 2 shown]
	s_branch .LBB8_50
.LBB8_49:                               ;   in Loop: Header=BB8_50 Depth=1
	s_or_b64 exec, exec, s[16:17]
	buffer_load_dword v7, off, s[0:3], s32 offset:124 ; 4-byte Folded Reload
	buffer_load_dword v9, off, s[0:3], s32 offset:136 ; 4-byte Folded Reload
	;; [unrolled: 1-line block ×3, first 2 shown]
	v_add_co_u32_e32 v34, vcc, 1, v34
	v_addc_co_u32_e32 v35, vcc, 0, v35, vcc
	s_waitcnt vmcnt(0)
	v_add_co_u32_e32 v42, vcc, v42, v7
	v_add_u32_e32 v10, v10, v9
	buffer_load_dword v9, off, s[0:3], s32 offset:76 ; 4-byte Folded Reload
	v_addc_co_u32_e32 v43, vcc, 0, v43, vcc
	v_add_co_u32_e32 v5, vcc, v5, v7
	v_addc_co_u32_e32 v6, vcc, 0, v6, vcc
	v_cmp_ge_u64_e32 vcc, v[42:43], v[28:29]
	buffer_store_dword v10, off, s[0:3], s32 offset:72 ; 4-byte Folded Spill
	s_or_b64 s[26:27], vcc, s[26:27]
	s_waitcnt vmcnt(0)
	v_add_co_u32_e32 v9, vcc, v9, v7
	buffer_load_dword v7, off, s[0:3], s32 offset:80 ; 4-byte Folded Reload
	s_waitcnt vmcnt(0)
	v_addc_co_u32_e32 v7, vcc, 0, v7, vcc
	buffer_store_dword v9, off, s[0:3], s32 offset:76 ; 4-byte Folded Spill
	buffer_store_dword v7, off, s[0:3], s32 offset:80 ; 4-byte Folded Spill
	s_andn2_b64 exec, exec, s[26:27]
	s_cbranch_execz .LBB8_319
.LBB8_50:                               ; =>This Loop Header: Depth=1
                                        ;     Child Loop BB8_56 Depth 2
                                        ;     Child Loop BB8_75 Depth 2
	;; [unrolled: 1-line block ×9, first 2 shown]
                                        ;       Child Loop BB8_173 Depth 3
                                        ;       Child Loop BB8_192 Depth 3
	;; [unrolled: 1-line block ×3, first 2 shown]
                                        ;         Child Loop BB8_218 Depth 4
                                        ;       Child Loop BB8_252 Depth 3
                                        ;       Child Loop BB8_209 Depth 3
                                        ;     Child Loop BB8_267 Depth 2
                                        ;       Child Loop BB8_271 Depth 3
                                        ;     Child Loop BB8_307 Depth 2
	v_sub_co_u32_e32 v7, vcc, v28, v42
	v_subb_co_u32_e32 v9, vcc, v29, v43, vcc
	v_cvt_f64_u32_e32 v[9:10], v9
	v_cvt_f64_u32_e32 v[11:12], v7
	v_ldexp_f64 v[9:10], v[9:10], 32
	v_add_f64 v[9:10], v[9:10], v[11:12]
	buffer_load_dword v11, off, s[0:3], s32 offset:128 ; 4-byte Folded Reload
	buffer_load_dword v12, off, s[0:3], s32 offset:132 ; 4-byte Folded Reload
	s_waitcnt vmcnt(0)
	v_max_f64 v[11:12], v[11:12], v[11:12]
	v_min_f64 v[9:10], v[11:12], v[9:10]
	v_cvt_i32_f64_e32 v7, v[9:10]
	buffer_load_dword v10, off, s[0:3], s32 offset:84 ; 4-byte Folded Reload
	buffer_load_dword v11, off, s[0:3], s32 offset:88 ; 4-byte Folded Reload
	flat_load_dword v9, v[23:24]
	buffer_load_dword v55, off, s[0:3], s32 offset:108 ; 4-byte Folded Reload
	buffer_load_dword v56, off, s[0:3], s32 offset:112 ; 4-byte Folded Reload
	;; [unrolled: 1-line block ×4, first 2 shown]
	v_max_i32_e32 v63, 0, v7
	v_add_u32_e32 v7, 7, v63
	s_waitcnt vmcnt(0)
	v_add_co_u32_e32 v10, vcc, v42, v10
	s_waitcnt lgkmcnt(0)
	v_ashrrev_i32_e32 v12, 31, v9
	v_mul_lo_u32 v18, v27, v9
	v_mul_lo_u32 v12, v0, v12
	v_mad_u64_u32 v[20:21], s[16:17], v0, v9, 0
	v_addc_co_u32_e32 v11, vcc, v43, v11, vcc
	v_add3_u32 v21, v21, v12, v18
	v_add_co_u32_e32 v18, vcc, v57, v10
	v_addc_co_u32_e32 v19, vcc, v58, v11, vcc
	v_add_co_u32_e32 v44, vcc, v55, v10
	v_addc_co_u32_e32 v45, vcc, v56, v11, vcc
	v_add_co_u32_e32 v25, vcc, v44, v20
	v_ashrrev_i32_e32 v9, 31, v7
	v_addc_co_u32_e32 v26, vcc, v45, v21, vcc
	v_lshrrev_b32_e32 v9, 29, v9
	v_cmp_ne_u64_e32 vcc, v[18:19], v[25:26]
	v_add_u32_e32 v7, v7, v9
	v_ashrrev_i32_e32 v7, 3, v7
	buffer_store_dword v7, off, s[0:3], s32 offset:64 ; 4-byte Folded Spill
	s_and_saveexec_b64 s[16:17], vcc
	s_xor_b64 s[18:19], exec, s[16:17]
	s_cbranch_execz .LBB8_116
; %bb.51:                               ;   in Loop: Header=BB8_50 Depth=1
	s_and_saveexec_b64 s[44:45], s[6:7]
	s_cbranch_execz .LBB8_67
; %bb.52:                               ;   in Loop: Header=BB8_50 Depth=1
	v_add_co_u32_e32 v18, vcc, 1, v15
	v_addc_co_u32_e32 v19, vcc, 0, v16, vcc
	v_add_co_u32_e32 v25, vcc, 8, v52
	v_addc_co_u32_e32 v26, vcc, 0, v53, vcc
	v_cmp_lt_u64_e32 vcc, v[25:26], v[18:19]
	s_and_saveexec_b64 s[46:47], vcc
	s_cbranch_execz .LBB8_64
; %bb.53:                               ;   in Loop: Header=BB8_50 Depth=1
	s_mov_b32 s92, 0
	v_cmp_eq_u32_e32 vcc, 0, v8
	s_mov_b64 s[56:57], 0
                                        ; implicit-def: $sgpr58_sgpr59
                                        ; implicit-def: $sgpr60_sgpr61
                                        ; implicit-def: $sgpr62_sgpr63
	s_branch .LBB8_56
.LBB8_54:                               ;   in Loop: Header=BB8_56 Depth=2
	s_or_b64 exec, exec, s[88:89]
	s_andn2_b64 s[16:17], s[62:63], exec
	s_and_b64 s[62:63], s[76:77], exec
	s_or_b64 s[62:63], s[16:17], s[62:63]
	s_andn2_b64 s[16:17], s[60:61], exec
	s_and_b64 s[60:61], s[74:75], exec
	v_mov_b32_e32 v12, 0
	s_or_b64 s[60:61], s[16:17], s[60:61]
.LBB8_55:                               ;   in Loop: Header=BB8_56 Depth=2
	s_or_b64 exec, exec, s[72:73]
	s_and_b64 s[16:17], exec, s[60:61]
	s_or_b64 s[56:57], s[16:17], s[56:57]
	s_andn2_b64 s[16:17], s[58:59], exec
	s_and_b64 s[58:59], s[62:63], exec
	s_or_b64 s[58:59], s[16:17], s[58:59]
	s_andn2_b64 exec, exec, s[56:57]
	s_cbranch_execz .LBB8_61
.LBB8_56:                               ;   Parent Loop BB8_50 Depth=1
                                        ; =>  This Inner Loop Header: Depth=2
	s_sleep 1
	s_waitcnt vmcnt(0) lgkmcnt(0)
	flat_load_dwordx2 v[52:53], v[50:51] glc
	s_or_b64 s[62:63], s[62:63], exec
	s_or_b64 s[60:61], s[60:61], exec
	v_mov_b32_e32 v12, v8
                                        ; implicit-def: $vgpr7
	s_and_saveexec_b64 s[72:73], vcc
	s_cbranch_execz .LBB8_55
; %bb.57:                               ;   in Loop: Header=BB8_56 Depth=2
	s_add_i32 s92, s92, 1
	s_cmpk_lg_i32 s92, 0x2710
	s_cselect_b64 s[78:79], -1, 0
	s_cmpk_eq_i32 s92, 0x2710
	s_mov_b64 s[74:75], -1
	s_mov_b64 s[76:77], -1
                                        ; implicit-def: $vgpr7
	s_cbranch_scc1 .LBB8_59
; %bb.58:                               ;   in Loop: Header=BB8_56 Depth=2
	s_and_saveexec_b64 s[88:89], s[78:79]
	s_cbranch_execz .LBB8_54
	s_branch .LBB8_60
.LBB8_59:                               ;   in Loop: Header=BB8_56 Depth=2
	s_trap 2
	ds_read_b64 v[25:26], v0
	s_andn2_b64 s[78:79], s[78:79], exec
	s_mov_b32 s92, 0
	s_mov_b64 s[76:77], 0
	s_waitcnt vmcnt(0) lgkmcnt(0)
	flat_load_dword v7, v[25:26] glc
	s_waitcnt vmcnt(0) lgkmcnt(0)
	buffer_wbinvl1_vol
	v_cmp_eq_u32_e64 s[16:17], 0, v7
	s_and_b64 s[16:17], s[16:17], exec
	s_or_b64 s[78:79], s[78:79], s[16:17]
	s_and_saveexec_b64 s[88:89], s[78:79]
	s_cbranch_execz .LBB8_54
.LBB8_60:                               ;   in Loop: Header=BB8_56 Depth=2
	s_waitcnt vmcnt(0) lgkmcnt(0)
	v_add_co_u32_e64 v25, s[16:17], 8, v52
	v_addc_co_u32_e64 v26, s[16:17], 0, v53, s[16:17]
	v_cmp_ge_u64_e64 s[16:17], v[25:26], v[18:19]
	s_or_b64 s[76:77], s[76:77], exec
	s_orn2_b64 s[74:75], s[16:17], exec
	s_branch .LBB8_54
.LBB8_61:                               ;   in Loop: Header=BB8_50 Depth=1
	s_or_b64 exec, exec, s[56:57]
	s_xor_b64 s[16:17], s[58:59], -1
	s_and_saveexec_b64 s[56:57], s[16:17]
	s_xor_b64 s[16:17], exec, s[56:57]
	s_cbranch_execz .LBB8_63
; %bb.62:                               ;   in Loop: Header=BB8_50 Depth=1
	v_mov_b32_e32 v12, 1
	s_waitcnt lgkmcnt(0)
	ds_write_b32 v0, v7
	s_trap 2
.LBB8_63:                               ;   in Loop: Header=BB8_50 Depth=1
	s_or_b64 exec, exec, s[16:17]
	v_mov_b32_e32 v8, v12
.LBB8_64:                               ;   in Loop: Header=BB8_50 Depth=1
	s_or_b64 exec, exec, s[46:47]
	s_and_saveexec_b64 s[16:17], s[8:9]
	s_cbranch_execz .LBB8_66
; %bb.65:                               ;   in Loop: Header=BB8_50 Depth=1
	v_and_b32_e32 v7, 7, v15
	v_and_b32_e32 v25, 0x7ffffff8, v15
	v_mad_u64_u32 v[15:16], s[46:47], v7, 24, v[13:14]
	buffer_load_dword v7, off, s[0:3], s32 offset:64 ; 4-byte Folded Reload
	v_mov_b32_e32 v26, v17
	v_cmp_eq_u64_e32 vcc, s[42:43], v[25:26]
	s_waitcnt vmcnt(0)
	v_cndmask_b32_e32 v7, v7, v54, vcc
	v_lshlrev_b32_e32 v25, 4, v7
	v_ashrrev_i32_e32 v26, 31, v25
	flat_store_dwordx2 v[15:16], v[25:26] offset:8
	s_waitcnt vmcnt(0)
.LBB8_66:                               ;   in Loop: Header=BB8_50 Depth=1
	s_or_b64 exec, exec, s[16:17]
	v_mov_b32_e32 v15, v18
	v_mov_b32_e32 v16, v19
.LBB8_67:                               ;   in Loop: Header=BB8_50 Depth=1
	s_or_b64 exec, exec, s[44:45]
	s_and_saveexec_b64 s[16:17], s[10:11]
	s_cbranch_execz .LBB8_86
; %bb.68:                               ;   in Loop: Header=BB8_50 Depth=1
	s_and_saveexec_b64 s[44:45], s[28:29]
	s_xor_b64 s[44:45], exec, s[44:45]
	s_cbranch_execz .LBB8_83
; %bb.69:                               ;   in Loop: Header=BB8_50 Depth=1
	s_and_saveexec_b64 s[46:47], s[12:13]
	s_cbranch_execz .LBB8_82
; %bb.70:                               ;   in Loop: Header=BB8_50 Depth=1
	s_mov_b64 s[58:59], exec
	v_mbcnt_lo_u32_b32 v7, s58, 0
	v_mbcnt_hi_u32_b32 v7, s59, v7
	v_cmp_eq_u32_e32 vcc, 0, v7
	s_waitcnt vmcnt(0) lgkmcnt(0)
	buffer_wbinvl1_vol
	s_and_saveexec_b64 s[56:57], vcc
	s_cbranch_execz .LBB8_72
; %bb.71:                               ;   in Loop: Header=BB8_50 Depth=1
	s_bcnt1_i32_b64 s58, s[58:59]
	v_mov_b32_e32 v18, s58
	v_mov_b32_e32 v19, v17
	ds_add_u64 v0, v[18:19]
	s_trap 2
.LBB8_72:                               ;   in Loop: Header=BB8_50 Depth=1
	s_or_b64 exec, exec, s[56:57]
	s_trap 2
	ds_read_b64 v[18:19], v0
	s_waitcnt lgkmcnt(0)
	buffer_load_dword v7, off, s[0:3], s32 offset:68 ; 4-byte Folded Reload
	s_waitcnt vmcnt(0)
	v_add_co_u32_e32 v2, vcc, v2, v7
	v_addc_co_u32_e32 v3, vcc, 0, v3, vcc
	v_cmp_lt_u64_e32 vcc, v[18:19], v[2:3]
	s_and_saveexec_b64 s[56:57], vcc
	s_cbranch_execz .LBB8_81
; %bb.73:                               ;   in Loop: Header=BB8_50 Depth=1
	s_mov_b32 s78, 0
	s_mov_b64 s[58:59], 0
                                        ; implicit-def: $sgpr60_sgpr61
                                        ; implicit-def: $sgpr62_sgpr63
	s_branch .LBB8_75
.LBB8_74:                               ;   in Loop: Header=BB8_75 Depth=2
	s_or_b64 exec, exec, s[74:75]
	s_and_b64 s[72:73], exec, s[76:77]
	s_or_b64 s[58:59], s[72:73], s[58:59]
	s_andn2_b64 s[60:61], s[60:61], exec
	s_and_b64 s[72:73], s[62:63], exec
	s_or_b64 s[60:61], s[60:61], s[72:73]
	s_andn2_b64 exec, exec, s[58:59]
	s_cbranch_execz .LBB8_79
.LBB8_75:                               ;   Parent Loop BB8_50 Depth=1
                                        ; =>  This Inner Loop Header: Depth=2
	s_add_i32 s78, s78, 1
	s_cmpk_lg_i32 s78, 0x2710
	s_cselect_b64 s[72:73], -1, 0
	s_and_b64 vcc, exec, s[72:73]
	s_cbranch_vccz .LBB8_77
; %bb.76:                               ;   in Loop: Header=BB8_75 Depth=2
	s_mov_b64 s[76:77], -1
	s_or_b64 s[62:63], s[62:63], exec
	s_and_saveexec_b64 s[74:75], s[72:73]
	s_cbranch_execz .LBB8_74
	s_branch .LBB8_78
.LBB8_77:                               ;   in Loop: Header=BB8_75 Depth=2
	s_trap 2
	ds_read_b64 v[18:19], v0
	s_andn2_b64 s[72:73], s[72:73], exec
	s_mov_b32 s78, 0
	s_waitcnt lgkmcnt(0)
	flat_load_dword v7, v[18:19] glc
	s_waitcnt vmcnt(0) lgkmcnt(0)
	buffer_wbinvl1_vol
	v_cmp_eq_u32_e32 vcc, 0, v7
	s_and_b64 s[74:75], vcc, exec
	s_or_b64 s[72:73], s[72:73], s[74:75]
	s_mov_b64 s[76:77], -1
	s_or_b64 s[62:63], s[62:63], exec
	s_and_saveexec_b64 s[74:75], s[72:73]
	s_cbranch_execz .LBB8_74
.LBB8_78:                               ;   in Loop: Header=BB8_75 Depth=2
	s_sleep 1
	s_trap 2
	ds_read_b64 v[18:19], v0
	s_waitcnt lgkmcnt(0)
	s_andn2_b64 s[62:63], s[62:63], exec
	v_cmp_ge_u64_e32 vcc, v[18:19], v[2:3]
	s_orn2_b64 s[76:77], vcc, exec
	s_branch .LBB8_74
.LBB8_79:                               ;   in Loop: Header=BB8_50 Depth=1
	s_or_b64 exec, exec, s[58:59]
	s_and_saveexec_b64 s[58:59], s[60:61]
	s_xor_b64 s[58:59], exec, s[58:59]
	s_cbranch_execz .LBB8_81
; %bb.80:                               ;   in Loop: Header=BB8_50 Depth=1
	v_mov_b32_e32 v7, 1
	ds_write_b32 v0, v7
	s_trap 2
.LBB8_81:                               ;   in Loop: Header=BB8_50 Depth=1
	s_or_b64 exec, exec, s[56:57]
	;;#ASMSTART
	s_wakeup
	;;#ASMEND
.LBB8_82:                               ;   in Loop: Header=BB8_50 Depth=1
	s_or_b64 exec, exec, s[46:47]
.LBB8_83:                               ;   in Loop: Header=BB8_50 Depth=1
	s_andn2_saveexec_b64 s[44:45], s[44:45]
	s_cbranch_execz .LBB8_85
; %bb.84:                               ;   in Loop: Header=BB8_50 Depth=1
	s_waitcnt vmcnt(0) lgkmcnt(0)
	buffer_wbinvl1_vol
	s_barrier
.LBB8_85:                               ;   in Loop: Header=BB8_50 Depth=1
	s_or_b64 exec, exec, s[44:45]
.LBB8_86:                               ;   in Loop: Header=BB8_50 Depth=1
	s_or_b64 exec, exec, s[16:17]
	v_lshlrev_b32_e32 v7, 3, v4
	v_sub_u32_e32 v7, v63, v7
	v_cmp_lt_i32_e32 vcc, 0, v7
	v_mov_b32_e32 v56, v4
	s_and_saveexec_b64 s[44:45], vcc
	s_cbranch_execz .LBB8_112
; %bb.87:                               ;   in Loop: Header=BB8_50 Depth=1
	v_and_b32_e32 v9, 7, v46
	v_mul_lo_u32 v28, v9, v54
	v_lshlrev_b32_e32 v9, 3, v4
	v_not_b32_e32 v9, v9
	v_add_u32_e32 v12, v9, v63
	buffer_load_dword v9, off, s[0:3], s32 offset:76 ; 4-byte Folded Reload
	buffer_load_dword v26, off, s[0:3], s32 offset:72 ; 4-byte Folded Reload
	v_ashrrev_i32_e32 v29, 31, v28
	v_mov_b32_e32 v59, 0
	v_add_u32_e32 v19, 1, v46
	s_mov_b64 s[46:47], 0
	v_mov_b32_e32 v60, 0
	v_mov_b32_e32 v56, v4
	s_waitcnt vmcnt(0)
	v_add_co_u32_e32 v22, vcc, v9, v20
	buffer_load_dword v9, off, s[0:3], s32 offset:80 ; 4-byte Folded Reload
	s_waitcnt vmcnt(0)
	v_addc_co_u32_e32 v25, vcc, v9, v21, vcc
	buffer_load_dword v9, off, s[0:3], s32 offset:152 ; 4-byte Folded Reload
	v_lshlrev_b64 v[20:21], 4, v[28:29]
	s_waitcnt vmcnt(0)
	v_add_co_u32_e32 v57, vcc, v9, v20
	buffer_load_dword v9, off, s[0:3], s32 offset:156 ; 4-byte Folded Reload
	s_waitcnt vmcnt(0)
	v_addc_co_u32_e32 v58, vcc, v9, v21, vcc
	s_branch .LBB8_89
.LBB8_88:                               ;   in Loop: Header=BB8_89 Depth=2
	v_add_co_u32_e32 v59, vcc, v59, v31
	v_sub_u32_e32 v7, v7, v31
	v_addc_co_u32_e32 v60, vcc, 0, v60, vcc
	v_cmp_gt_i32_e32 vcc, 1, v7
	v_lshlrev_b32_e32 v9, 6, v1
	s_or_b64 s[46:47], vcc, s[46:47]
	v_add_co_u32_e32 v57, vcc, v57, v40
	v_add_u32_e32 v56, v56, v1
	v_add_u32_e32 v26, v26, v9
	v_addc_co_u32_e32 v58, vcc, v58, v41, vcc
	s_andn2_b64 exec, exec, s[46:47]
	s_cbranch_execz .LBB8_111
.LBB8_89:                               ;   Parent Loop BB8_50 Depth=1
                                        ; =>  This Inner Loop Header: Depth=2
	v_add_co_u32_e32 v9, vcc, v5, v59
	v_addc_co_u32_e32 v21, vcc, v6, v60, vcc
	v_and_b32_e32 v20, -4, v9
	global_load_dword v18, v[20:21], off glc slc
	v_min_u32_e32 v28, 8, v7
	v_and_b32_e32 v9, 3, v9
	v_add_u32_e32 v29, v9, v28
	v_cmp_lt_u32_e32 vcc, 4, v29
	v_mov_b32_e32 v28, 0
	v_mov_b32_e32 v55, 0
	s_and_saveexec_b64 s[16:17], vcc
	s_cbranch_execz .LBB8_91
; %bb.90:                               ;   in Loop: Header=BB8_89 Depth=2
	global_load_dword v55, v[20:21], off offset:4 glc slc
.LBB8_91:                               ;   in Loop: Header=BB8_89 Depth=2
	s_or_b64 exec, exec, s[16:17]
	v_mov_b32_e32 v30, v17
	v_cmp_lt_u64_e32 vcc, 8, v[29:30]
	s_and_saveexec_b64 s[16:17], vcc
	s_cbranch_execz .LBB8_93
; %bb.92:                               ;   in Loop: Header=BB8_89 Depth=2
	global_load_dword v28, v[20:21], off offset:8 glc slc
.LBB8_93:                               ;   in Loop: Header=BB8_89 Depth=2
	s_or_b64 exec, exec, s[16:17]
	v_add_co_u32_e32 v61, vcc, v22, v59
	v_addc_co_u32_e32 v62, vcc, v25, v60, vcc
	v_cmp_lt_u32_e32 vcc, 7, v7
	s_waitcnt vmcnt(0)
	v_alignbit_b32 v18, v55, v18, v26
	v_alignbit_b32 v20, v28, v55, v26
	v_mov_b32_e32 v21, v19
	s_cmp_lg_u64 vcc, exec
	s_mov_b64 s[16:17], -1
	global_store_dwordx4 v[57:58], v[18:21], off
	s_cbranch_scc0 .LBB8_103
; %bb.94:                               ;   in Loop: Header=BB8_89 Depth=2
	v_cmp_ne_u32_e64 s[16:17], v12, v59
	flat_store_byte v[61:62], v18
	s_and_saveexec_b64 s[56:57], s[16:17]
	s_cbranch_execnz .LBB8_105
; %bb.95:                               ;   in Loop: Header=BB8_89 Depth=2
	s_or_b64 exec, exec, s[56:57]
	v_cmp_lt_u32_e64 s[16:17], 2, v7
	s_and_saveexec_b64 s[56:57], s[16:17]
	s_cbranch_execnz .LBB8_106
.LBB8_96:                               ;   in Loop: Header=BB8_89 Depth=2
	s_or_b64 exec, exec, s[56:57]
	v_cmp_lt_u32_e64 s[16:17], 3, v7
	s_and_saveexec_b64 s[56:57], s[16:17]
	s_cbranch_execnz .LBB8_107
.LBB8_97:                               ;   in Loop: Header=BB8_89 Depth=2
	s_or_b64 exec, exec, s[56:57]
	v_cmp_lt_u32_e64 s[16:17], 4, v7
	s_and_saveexec_b64 s[56:57], s[16:17]
	s_cbranch_execnz .LBB8_108
.LBB8_98:                               ;   in Loop: Header=BB8_89 Depth=2
	s_or_b64 exec, exec, s[56:57]
	v_cmp_lt_u32_e64 s[16:17], 5, v7
	s_and_saveexec_b64 s[56:57], s[16:17]
	s_cbranch_execnz .LBB8_109
.LBB8_99:                               ;   in Loop: Header=BB8_89 Depth=2
	s_or_b64 exec, exec, s[56:57]
	v_cmp_lt_u32_e64 s[16:17], 6, v7
	s_and_saveexec_b64 s[56:57], s[16:17]
	s_cbranch_execnz .LBB8_110
.LBB8_100:                              ;   in Loop: Header=BB8_89 Depth=2
	s_or_b64 exec, exec, s[56:57]
	s_and_saveexec_b64 s[16:17], vcc
	s_cbranch_execz .LBB8_102
.LBB8_101:                              ;   in Loop: Header=BB8_89 Depth=2
	v_lshrrev_b32_e32 v9, 24, v20
	flat_store_byte v[61:62], v9 offset:7
.LBB8_102:                              ;   in Loop: Header=BB8_89 Depth=2
	s_or_b64 exec, exec, s[16:17]
	s_mov_b64 s[16:17], 0
.LBB8_103:                              ;   in Loop: Header=BB8_89 Depth=2
	s_and_b64 vcc, exec, s[16:17]
	s_cbranch_vccz .LBB8_88
; %bb.104:                              ;   in Loop: Header=BB8_89 Depth=2
	v_mov_b32_e32 v28, v18
	v_mov_b32_e32 v29, v20
	global_store_dwordx2 v[61:62], v[28:29], off
	s_branch .LBB8_88
.LBB8_105:                              ;   in Loop: Header=BB8_89 Depth=2
	v_lshrrev_b32_e32 v9, 8, v18
	flat_store_byte v[61:62], v9 offset:1
	s_or_b64 exec, exec, s[56:57]
	v_cmp_lt_u32_e64 s[16:17], 2, v7
	s_and_saveexec_b64 s[56:57], s[16:17]
	s_cbranch_execz .LBB8_96
.LBB8_106:                              ;   in Loop: Header=BB8_89 Depth=2
	flat_store_byte_d16_hi v[61:62], v18 offset:2
	s_or_b64 exec, exec, s[56:57]
	v_cmp_lt_u32_e64 s[16:17], 3, v7
	s_and_saveexec_b64 s[56:57], s[16:17]
	s_cbranch_execz .LBB8_97
.LBB8_107:                              ;   in Loop: Header=BB8_89 Depth=2
	v_lshrrev_b32_e32 v9, 24, v18
	flat_store_byte v[61:62], v9 offset:3
	s_or_b64 exec, exec, s[56:57]
	v_cmp_lt_u32_e64 s[16:17], 4, v7
	s_and_saveexec_b64 s[56:57], s[16:17]
	s_cbranch_execz .LBB8_98
.LBB8_108:                              ;   in Loop: Header=BB8_89 Depth=2
	flat_store_byte v[61:62], v20 offset:4
	s_or_b64 exec, exec, s[56:57]
	v_cmp_lt_u32_e64 s[16:17], 5, v7
	s_and_saveexec_b64 s[56:57], s[16:17]
	s_cbranch_execz .LBB8_99
.LBB8_109:                              ;   in Loop: Header=BB8_89 Depth=2
	v_lshrrev_b32_e32 v9, 8, v20
	flat_store_byte v[61:62], v9 offset:5
	s_or_b64 exec, exec, s[56:57]
	v_cmp_lt_u32_e64 s[16:17], 6, v7
	s_and_saveexec_b64 s[56:57], s[16:17]
	s_cbranch_execz .LBB8_100
.LBB8_110:                              ;   in Loop: Header=BB8_89 Depth=2
	flat_store_byte_d16_hi v[61:62], v20 offset:6
	s_or_b64 exec, exec, s[56:57]
	s_and_saveexec_b64 s[16:17], vcc
	s_cbranch_execnz .LBB8_101
	s_branch .LBB8_102
.LBB8_111:                              ;   in Loop: Header=BB8_50 Depth=1
	s_or_b64 exec, exec, s[46:47]
	buffer_load_dword v18, off, s[0:3], s32 offset:92 ; 4-byte Folded Reload
	buffer_load_dword v19, off, s[0:3], s32 offset:96 ; 4-byte Folded Reload
	;; [unrolled: 1-line block ×4, first 2 shown]
	s_waitcnt vmcnt(0)
	v_mov_b32_e32 v29, v21
	v_mov_b32_e32 v28, v20
.LBB8_112:                              ;   in Loop: Header=BB8_50 Depth=1
	s_or_b64 exec, exec, s[44:45]
	v_and_b32_e32 v18, 0x7ffffff8, v46
	v_mov_b32_e32 v19, v17
	v_cmp_eq_u64_e32 vcc, s[42:43], v[18:19]
	v_cmp_lt_i32_e64 s[16:17], v56, v54
	s_and_b64 s[16:17], vcc, s[16:17]
	s_and_saveexec_b64 s[44:45], s[16:17]
	s_cbranch_execz .LBB8_115
; %bb.113:                              ;   in Loop: Header=BB8_50 Depth=1
	v_and_b32_e32 v7, 7, v46
	v_mul_lo_u32 v19, v7, v54
	v_ashrrev_i32_e32 v57, 31, v56
	v_lshlrev_b64 v[21:22], 4, v[56:57]
	v_add_u32_e32 v18, 1, v46
	v_ashrrev_i32_e32 v20, 31, v19
	v_lshlrev_b64 v[19:20], 4, v[19:20]
	s_mov_b64 s[46:47], 0
	v_add_co_u32_e32 v7, vcc, v21, v19
	v_addc_co_u32_e32 v9, vcc, v22, v20, vcc
	v_add_co_u32_e32 v21, vcc, v36, v7
	v_addc_co_u32_e32 v22, vcc, v37, v9, vcc
.LBB8_114:                              ;   Parent Loop BB8_50 Depth=1
                                        ; =>  This Inner Loop Header: Depth=2
	v_mov_b32_e32 v19, v17
	v_mov_b32_e32 v20, v18
	v_add_u32_e32 v56, v56, v1
	global_store_dwordx4 v[21:22], v[17:20], off
	v_add_co_u32_e32 v21, vcc, v21, v40
	v_cmp_ge_i32_e64 s[16:17], v56, v54
	s_or_b64 s[46:47], s[16:17], s[46:47]
	v_addc_co_u32_e32 v22, vcc, v22, v41, vcc
	s_andn2_b64 exec, exec, s[46:47]
	s_cbranch_execnz .LBB8_114
.LBB8_115:                              ;   in Loop: Header=BB8_50 Depth=1
	s_or_b64 exec, exec, s[44:45]
.LBB8_116:                              ;   in Loop: Header=BB8_50 Depth=1
	s_andn2_saveexec_b64 s[18:19], s[18:19]
	s_cbranch_execz .LBB8_164
; %bb.117:                              ;   in Loop: Header=BB8_50 Depth=1
	s_and_saveexec_b64 s[44:45], s[6:7]
	s_cbranch_execz .LBB8_133
; %bb.118:                              ;   in Loop: Header=BB8_50 Depth=1
	v_add_co_u32_e32 v18, vcc, 1, v15
	v_addc_co_u32_e32 v19, vcc, 0, v16, vcc
	s_waitcnt vmcnt(0) lgkmcnt(0)
	v_add_co_u32_e32 v20, vcc, 8, v52
	v_addc_co_u32_e32 v21, vcc, 0, v53, vcc
	v_cmp_lt_u64_e32 vcc, v[20:21], v[18:19]
	s_and_saveexec_b64 s[46:47], vcc
	s_cbranch_execz .LBB8_130
; %bb.119:                              ;   in Loop: Header=BB8_50 Depth=1
	s_mov_b32 s92, 0
	v_cmp_eq_u32_e32 vcc, 0, v8
	s_mov_b64 s[56:57], 0
                                        ; implicit-def: $sgpr58_sgpr59
                                        ; implicit-def: $sgpr60_sgpr61
                                        ; implicit-def: $sgpr62_sgpr63
	s_branch .LBB8_122
.LBB8_120:                              ;   in Loop: Header=BB8_122 Depth=2
	s_or_b64 exec, exec, s[88:89]
	s_andn2_b64 s[16:17], s[62:63], exec
	s_and_b64 s[62:63], s[76:77], exec
	s_or_b64 s[62:63], s[16:17], s[62:63]
	s_andn2_b64 s[16:17], s[60:61], exec
	s_and_b64 s[60:61], s[74:75], exec
	v_mov_b32_e32 v12, 0
	s_or_b64 s[60:61], s[16:17], s[60:61]
.LBB8_121:                              ;   in Loop: Header=BB8_122 Depth=2
	s_or_b64 exec, exec, s[72:73]
	s_and_b64 s[16:17], exec, s[60:61]
	s_or_b64 s[56:57], s[16:17], s[56:57]
	s_andn2_b64 s[16:17], s[58:59], exec
	s_and_b64 s[58:59], s[62:63], exec
	s_or_b64 s[58:59], s[16:17], s[58:59]
	s_andn2_b64 exec, exec, s[56:57]
	s_cbranch_execz .LBB8_127
.LBB8_122:                              ;   Parent Loop BB8_50 Depth=1
                                        ; =>  This Inner Loop Header: Depth=2
	s_sleep 1
	s_waitcnt vmcnt(0) lgkmcnt(0)
	flat_load_dwordx2 v[52:53], v[50:51] glc
	s_or_b64 s[62:63], s[62:63], exec
	s_or_b64 s[60:61], s[60:61], exec
	v_mov_b32_e32 v12, v8
                                        ; implicit-def: $vgpr7
	s_and_saveexec_b64 s[72:73], vcc
	s_cbranch_execz .LBB8_121
; %bb.123:                              ;   in Loop: Header=BB8_122 Depth=2
	s_add_i32 s92, s92, 1
	s_cmpk_lg_i32 s92, 0x2710
	s_cselect_b64 s[78:79], -1, 0
	s_cmpk_eq_i32 s92, 0x2710
	s_mov_b64 s[74:75], -1
	s_mov_b64 s[76:77], -1
                                        ; implicit-def: $vgpr7
	s_cbranch_scc1 .LBB8_125
; %bb.124:                              ;   in Loop: Header=BB8_122 Depth=2
	s_and_saveexec_b64 s[88:89], s[78:79]
	s_cbranch_execz .LBB8_120
	s_branch .LBB8_126
.LBB8_125:                              ;   in Loop: Header=BB8_122 Depth=2
	s_trap 2
	ds_read_b64 v[20:21], v0
	s_andn2_b64 s[78:79], s[78:79], exec
	s_mov_b32 s92, 0
	s_mov_b64 s[76:77], 0
	s_waitcnt vmcnt(0) lgkmcnt(0)
	flat_load_dword v7, v[20:21] glc
	s_waitcnt vmcnt(0) lgkmcnt(0)
	buffer_wbinvl1_vol
	v_cmp_eq_u32_e64 s[16:17], 0, v7
	s_and_b64 s[16:17], s[16:17], exec
	s_or_b64 s[78:79], s[78:79], s[16:17]
	s_and_saveexec_b64 s[88:89], s[78:79]
	s_cbranch_execz .LBB8_120
.LBB8_126:                              ;   in Loop: Header=BB8_122 Depth=2
	s_waitcnt vmcnt(0) lgkmcnt(0)
	v_add_co_u32_e64 v20, s[16:17], 8, v52
	v_addc_co_u32_e64 v21, s[16:17], 0, v53, s[16:17]
	v_cmp_ge_u64_e64 s[16:17], v[20:21], v[18:19]
	s_or_b64 s[76:77], s[76:77], exec
	s_orn2_b64 s[74:75], s[16:17], exec
	s_branch .LBB8_120
.LBB8_127:                              ;   in Loop: Header=BB8_50 Depth=1
	s_or_b64 exec, exec, s[56:57]
	s_xor_b64 s[16:17], s[58:59], -1
	s_and_saveexec_b64 s[56:57], s[16:17]
	s_xor_b64 s[16:17], exec, s[56:57]
	s_cbranch_execz .LBB8_129
; %bb.128:                              ;   in Loop: Header=BB8_50 Depth=1
	v_mov_b32_e32 v12, 1
	s_waitcnt lgkmcnt(0)
	ds_write_b32 v0, v7
	s_trap 2
.LBB8_129:                              ;   in Loop: Header=BB8_50 Depth=1
	s_or_b64 exec, exec, s[16:17]
	v_mov_b32_e32 v8, v12
.LBB8_130:                              ;   in Loop: Header=BB8_50 Depth=1
	s_or_b64 exec, exec, s[46:47]
	s_and_saveexec_b64 s[16:17], s[8:9]
	s_cbranch_execz .LBB8_132
; %bb.131:                              ;   in Loop: Header=BB8_50 Depth=1
	v_and_b32_e32 v7, 7, v15
	v_and_b32_e32 v20, 0x7ffffff8, v15
	v_mad_u64_u32 v[15:16], s[46:47], v7, 24, v[13:14]
	buffer_load_dword v7, off, s[0:3], s32 offset:64 ; 4-byte Folded Reload
	v_mov_b32_e32 v21, v17
	v_cmp_eq_u64_e32 vcc, s[42:43], v[20:21]
	s_waitcnt vmcnt(0)
	v_cndmask_b32_e32 v7, v7, v54, vcc
	v_lshlrev_b32_e32 v20, 4, v7
	v_ashrrev_i32_e32 v21, 31, v20
	flat_store_dwordx2 v[15:16], v[20:21] offset:8
	s_waitcnt vmcnt(0)
.LBB8_132:                              ;   in Loop: Header=BB8_50 Depth=1
	s_or_b64 exec, exec, s[16:17]
	v_mov_b32_e32 v15, v18
	v_mov_b32_e32 v16, v19
.LBB8_133:                              ;   in Loop: Header=BB8_50 Depth=1
	s_or_b64 exec, exec, s[44:45]
	s_and_saveexec_b64 s[16:17], s[10:11]
	s_cbranch_execz .LBB8_152
; %bb.134:                              ;   in Loop: Header=BB8_50 Depth=1
	s_and_saveexec_b64 s[44:45], s[28:29]
	s_xor_b64 s[44:45], exec, s[44:45]
	s_cbranch_execz .LBB8_149
; %bb.135:                              ;   in Loop: Header=BB8_50 Depth=1
	s_and_saveexec_b64 s[46:47], s[12:13]
	s_cbranch_execz .LBB8_148
; %bb.136:                              ;   in Loop: Header=BB8_50 Depth=1
	s_mov_b64 s[58:59], exec
	v_mbcnt_lo_u32_b32 v7, s58, 0
	v_mbcnt_hi_u32_b32 v7, s59, v7
	v_cmp_eq_u32_e32 vcc, 0, v7
	s_waitcnt vmcnt(0) lgkmcnt(0)
	buffer_wbinvl1_vol
	s_and_saveexec_b64 s[56:57], vcc
	s_cbranch_execz .LBB8_138
; %bb.137:                              ;   in Loop: Header=BB8_50 Depth=1
	s_bcnt1_i32_b64 s58, s[58:59]
	v_mov_b32_e32 v18, s58
	v_mov_b32_e32 v19, v17
	ds_add_u64 v0, v[18:19]
	s_trap 2
.LBB8_138:                              ;   in Loop: Header=BB8_50 Depth=1
	s_or_b64 exec, exec, s[56:57]
	s_trap 2
	ds_read_b64 v[18:19], v0
	s_waitcnt lgkmcnt(0)
	buffer_load_dword v7, off, s[0:3], s32 offset:68 ; 4-byte Folded Reload
	s_waitcnt vmcnt(0)
	v_add_co_u32_e32 v2, vcc, v2, v7
	v_addc_co_u32_e32 v3, vcc, 0, v3, vcc
	v_cmp_lt_u64_e32 vcc, v[18:19], v[2:3]
	s_and_saveexec_b64 s[56:57], vcc
	s_cbranch_execz .LBB8_147
; %bb.139:                              ;   in Loop: Header=BB8_50 Depth=1
	s_mov_b32 s78, 0
	s_mov_b64 s[58:59], 0
                                        ; implicit-def: $sgpr60_sgpr61
                                        ; implicit-def: $sgpr62_sgpr63
	s_branch .LBB8_141
.LBB8_140:                              ;   in Loop: Header=BB8_141 Depth=2
	s_or_b64 exec, exec, s[74:75]
	s_and_b64 s[72:73], exec, s[76:77]
	s_or_b64 s[58:59], s[72:73], s[58:59]
	s_andn2_b64 s[60:61], s[60:61], exec
	s_and_b64 s[72:73], s[62:63], exec
	s_or_b64 s[60:61], s[60:61], s[72:73]
	s_andn2_b64 exec, exec, s[58:59]
	s_cbranch_execz .LBB8_145
.LBB8_141:                              ;   Parent Loop BB8_50 Depth=1
                                        ; =>  This Inner Loop Header: Depth=2
	s_add_i32 s78, s78, 1
	s_cmpk_lg_i32 s78, 0x2710
	s_cselect_b64 s[72:73], -1, 0
	s_and_b64 vcc, exec, s[72:73]
	s_cbranch_vccz .LBB8_143
; %bb.142:                              ;   in Loop: Header=BB8_141 Depth=2
	s_mov_b64 s[76:77], -1
	s_or_b64 s[62:63], s[62:63], exec
	s_and_saveexec_b64 s[74:75], s[72:73]
	s_cbranch_execz .LBB8_140
	s_branch .LBB8_144
.LBB8_143:                              ;   in Loop: Header=BB8_141 Depth=2
	s_trap 2
	ds_read_b64 v[18:19], v0
	s_andn2_b64 s[72:73], s[72:73], exec
	s_mov_b32 s78, 0
	s_waitcnt lgkmcnt(0)
	flat_load_dword v7, v[18:19] glc
	s_waitcnt vmcnt(0) lgkmcnt(0)
	buffer_wbinvl1_vol
	v_cmp_eq_u32_e32 vcc, 0, v7
	s_and_b64 s[74:75], vcc, exec
	s_or_b64 s[72:73], s[72:73], s[74:75]
	s_mov_b64 s[76:77], -1
	s_or_b64 s[62:63], s[62:63], exec
	s_and_saveexec_b64 s[74:75], s[72:73]
	s_cbranch_execz .LBB8_140
.LBB8_144:                              ;   in Loop: Header=BB8_141 Depth=2
	s_sleep 1
	s_trap 2
	ds_read_b64 v[18:19], v0
	s_waitcnt lgkmcnt(0)
	s_andn2_b64 s[62:63], s[62:63], exec
	v_cmp_ge_u64_e32 vcc, v[18:19], v[2:3]
	s_orn2_b64 s[76:77], vcc, exec
	s_branch .LBB8_140
.LBB8_145:                              ;   in Loop: Header=BB8_50 Depth=1
	s_or_b64 exec, exec, s[58:59]
	s_and_saveexec_b64 s[58:59], s[60:61]
	s_xor_b64 s[58:59], exec, s[58:59]
	s_cbranch_execz .LBB8_147
; %bb.146:                              ;   in Loop: Header=BB8_50 Depth=1
	v_mov_b32_e32 v7, 1
	ds_write_b32 v0, v7
	s_trap 2
.LBB8_147:                              ;   in Loop: Header=BB8_50 Depth=1
	s_or_b64 exec, exec, s[56:57]
	;;#ASMSTART
	s_wakeup
	;;#ASMEND
.LBB8_148:                              ;   in Loop: Header=BB8_50 Depth=1
	s_or_b64 exec, exec, s[46:47]
.LBB8_149:                              ;   in Loop: Header=BB8_50 Depth=1
	s_andn2_saveexec_b64 s[44:45], s[44:45]
	s_cbranch_execz .LBB8_151
; %bb.150:                              ;   in Loop: Header=BB8_50 Depth=1
	s_waitcnt vmcnt(0) lgkmcnt(0)
	buffer_wbinvl1_vol
	s_barrier
.LBB8_151:                              ;   in Loop: Header=BB8_50 Depth=1
	s_or_b64 exec, exec, s[44:45]
.LBB8_152:                              ;   in Loop: Header=BB8_50 Depth=1
	s_or_b64 exec, exec, s[16:17]
	v_lshlrev_b32_e32 v7, 3, v4
	v_sub_u32_e32 v12, v63, v7
	v_cmp_lt_i32_e32 vcc, 0, v12
	v_and_b32_e32 v7, 7, v46
	v_add_u32_e32 v19, 1, v46
	v_mov_b32_e32 v56, v4
	s_and_saveexec_b64 s[16:17], vcc
	s_cbranch_execz .LBB8_160
; %bb.153:                              ;   in Loop: Header=BB8_50 Depth=1
	buffer_load_dword v9, off, s[0:3], s32 offset:152 ; 4-byte Folded Reload
	buffer_load_dword v22, off, s[0:3], s32 offset:72 ; 4-byte Folded Reload
	v_mul_lo_u32 v20, v7, v54
	v_mov_b32_e32 v30, v6
	s_mov_b64 s[44:45], 0
	v_mov_b32_e32 v29, v5
	v_ashrrev_i32_e32 v21, 31, v20
	v_lshlrev_b64 v[20:21], 4, v[20:21]
	v_mov_b32_e32 v56, v4
	s_waitcnt vmcnt(0)
	v_add_co_u32_e32 v57, vcc, v9, v20
	buffer_load_dword v9, off, s[0:3], s32 offset:156 ; 4-byte Folded Reload
	s_waitcnt vmcnt(0)
	v_addc_co_u32_e32 v58, vcc, v9, v21, vcc
	s_branch .LBB8_155
.LBB8_154:                              ;   in Loop: Header=BB8_155 Depth=2
	s_or_b64 exec, exec, s[46:47]
	v_add_co_u32_e32 v29, vcc, v29, v31
	v_sub_u32_e32 v12, v12, v31
	v_addc_co_u32_e32 v30, vcc, 0, v30, vcc
	s_waitcnt vmcnt(0)
	v_alignbit_b32 v18, v26, v18, v22
	v_alignbit_b32 v20, v25, v26, v22
	v_mov_b32_e32 v21, v19
	v_cmp_gt_i32_e32 vcc, 1, v12
	global_store_dwordx4 v[57:58], v[18:21], off
	v_lshlrev_b32_e32 v9, 6, v1
	s_or_b64 s[44:45], vcc, s[44:45]
	v_add_co_u32_e32 v57, vcc, v57, v40
	v_add_u32_e32 v56, v56, v1
	v_add_u32_e32 v22, v22, v9
	v_addc_co_u32_e32 v58, vcc, v58, v41, vcc
	s_andn2_b64 exec, exec, s[44:45]
	s_cbranch_execz .LBB8_159
.LBB8_155:                              ;   Parent Loop BB8_50 Depth=1
                                        ; =>  This Inner Loop Header: Depth=2
	v_and_b32_e32 v20, -4, v29
	v_mov_b32_e32 v21, v30
	global_load_dword v18, v[20:21], off glc slc
	v_min_u32_e32 v9, 8, v12
	v_and_b32_e32 v25, 3, v29
	v_add_u32_e32 v59, v25, v9
	v_cmp_lt_u32_e32 vcc, 4, v59
	v_mov_b32_e32 v25, 0
	v_mov_b32_e32 v26, 0
	s_and_saveexec_b64 s[46:47], vcc
	s_cbranch_execz .LBB8_157
; %bb.156:                              ;   in Loop: Header=BB8_155 Depth=2
	global_load_dword v26, v[20:21], off offset:4 glc slc
.LBB8_157:                              ;   in Loop: Header=BB8_155 Depth=2
	s_or_b64 exec, exec, s[46:47]
	v_mov_b32_e32 v60, v17
	v_cmp_lt_u64_e32 vcc, 8, v[59:60]
	s_and_saveexec_b64 s[46:47], vcc
	s_cbranch_execz .LBB8_154
; %bb.158:                              ;   in Loop: Header=BB8_155 Depth=2
	global_load_dword v25, v[20:21], off offset:8 glc slc
	s_branch .LBB8_154
.LBB8_159:                              ;   in Loop: Header=BB8_50 Depth=1
	s_or_b64 exec, exec, s[44:45]
	buffer_load_dword v57, off, s[0:3], s32 offset:92 ; 4-byte Folded Reload
	buffer_load_dword v58, off, s[0:3], s32 offset:96 ; 4-byte Folded Reload
	;; [unrolled: 1-line block ×4, first 2 shown]
	s_waitcnt vmcnt(0)
	v_mov_b32_e32 v28, v59
	v_mov_b32_e32 v29, v60
.LBB8_160:                              ;   in Loop: Header=BB8_50 Depth=1
	s_or_b64 exec, exec, s[16:17]
	v_and_b32_e32 v20, 0x7ffffff8, v46
	v_mov_b32_e32 v21, v17
	v_cmp_eq_u64_e32 vcc, s[42:43], v[20:21]
	v_cmp_lt_i32_e64 s[16:17], v56, v54
	s_and_b64 s[16:17], vcc, s[16:17]
	s_and_saveexec_b64 s[44:45], s[16:17]
	s_cbranch_execz .LBB8_163
; %bb.161:                              ;   in Loop: Header=BB8_50 Depth=1
	v_mul_lo_u32 v20, v7, v54
	v_ashrrev_i32_e32 v57, 31, v56
	v_mov_b32_e32 v18, v19
	v_lshlrev_b64 v[25:26], 4, v[56:57]
	v_ashrrev_i32_e32 v21, 31, v20
	v_lshlrev_b64 v[19:20], 4, v[20:21]
	s_mov_b64 s[46:47], 0
	v_add_co_u32_e32 v7, vcc, v25, v19
	v_addc_co_u32_e32 v9, vcc, v26, v20, vcc
	v_add_co_u32_e32 v21, vcc, v36, v7
	v_addc_co_u32_e32 v22, vcc, v37, v9, vcc
.LBB8_162:                              ;   Parent Loop BB8_50 Depth=1
                                        ; =>  This Inner Loop Header: Depth=2
	v_mov_b32_e32 v19, v17
	v_mov_b32_e32 v20, v18
	v_add_u32_e32 v56, v56, v1
	global_store_dwordx4 v[21:22], v[17:20], off
	v_add_co_u32_e32 v21, vcc, v21, v40
	v_cmp_ge_i32_e64 s[16:17], v56, v54
	s_or_b64 s[46:47], s[16:17], s[46:47]
	v_addc_co_u32_e32 v22, vcc, v22, v41, vcc
	s_andn2_b64 exec, exec, s[46:47]
	s_cbranch_execnz .LBB8_162
.LBB8_163:                              ;   in Loop: Header=BB8_50 Depth=1
	s_or_b64 exec, exec, s[44:45]
.LBB8_164:                              ;   in Loop: Header=BB8_50 Depth=1
	s_or_b64 exec, exec, s[18:19]
	v_lshlrev_b32_e32 v7, 3, v4
	s_mov_b64 s[16:17], -1
	s_andn2_b64 vcc, exec, s[40:41]
	v_sub_u32_e32 v7, v63, v7
                                        ; implicit-def: $vgpr12
	s_cbranch_vccnz .LBB8_166
; %bb.165:                              ;   in Loop: Header=BB8_50 Depth=1
	v_lshlrev_b32_e32 v9, 3, v4
	v_sub_u32_e32 v12, v63, v9
	s_mov_b64 s[16:17], 0
.LBB8_166:                              ;   in Loop: Header=BB8_50 Depth=1
	s_andn2_b64 vcc, exec, s[16:17]
	v_add_co_u32_e64 v56, s[16:17], 1, v46
	v_addc_co_u32_e64 v57, s[16:17], 0, v47, s[16:17]
	s_cbranch_vccnz .LBB8_263
; %bb.167:                              ;   in Loop: Header=BB8_50 Depth=1
	buffer_load_dword v9, off, s[0:3], s32 offset:144 ; 4-byte Folded Reload
	v_cmp_lt_i32_e64 s[16:17], 0, v7
	s_mov_b32 s92, 1
	s_waitcnt vmcnt(0)
	v_add_co_u32_e32 v58, vcc, v9, v10
	buffer_load_dword v9, off, s[0:3], s32 offset:148 ; 4-byte Folded Reload
	v_add_u16_e32 v10, 1, v46
	s_waitcnt vmcnt(0)
	v_addc_co_u32_e32 v59, vcc, v9, v11, vcc
.LBB8_168:                              ;   Parent Loop BB8_50 Depth=1
                                        ; =>  This Loop Header: Depth=2
                                        ;       Child Loop BB8_173 Depth 3
                                        ;       Child Loop BB8_192 Depth 3
	;; [unrolled: 1-line block ×3, first 2 shown]
                                        ;         Child Loop BB8_218 Depth 4
                                        ;       Child Loop BB8_252 Depth 3
                                        ;       Child Loop BB8_209 Depth 3
	s_sub_i32 s18, s90, s92
	s_ashr_i32 s19, s18, 31
	s_lshl_b64 s[18:19], s[18:19], 2
	v_mov_b32_e32 v9, s19
	v_add_co_u32_e32 v11, vcc, s18, v23
	v_addc_co_u32_e32 v12, vcc, v24, v9, vcc
	flat_load_dword v11, v[11:12]
	s_and_saveexec_b64 s[44:45], s[6:7]
	s_cbranch_execz .LBB8_184
; %bb.169:                              ;   in Loop: Header=BB8_168 Depth=2
	v_add_co_u32_e32 v18, vcc, 1, v15
	v_addc_co_u32_e32 v19, vcc, 0, v16, vcc
	s_waitcnt lgkmcnt(0)
	v_add_co_u32_e32 v20, vcc, 8, v52
	v_addc_co_u32_e32 v21, vcc, 0, v53, vcc
	v_cmp_lt_u64_e32 vcc, v[20:21], v[18:19]
	s_and_saveexec_b64 s[46:47], vcc
	s_cbranch_execz .LBB8_181
; %bb.170:                              ;   in Loop: Header=BB8_168 Depth=2
	s_mov_b32 s93, 0
	v_cmp_eq_u32_e32 vcc, 0, v8
	s_mov_b64 s[56:57], 0
                                        ; implicit-def: $sgpr58_sgpr59
                                        ; implicit-def: $sgpr60_sgpr61
                                        ; implicit-def: $sgpr62_sgpr63
	s_branch .LBB8_173
.LBB8_171:                              ;   in Loop: Header=BB8_173 Depth=3
	s_or_b64 exec, exec, s[88:89]
	s_andn2_b64 s[18:19], s[62:63], exec
	s_and_b64 s[62:63], s[76:77], exec
	s_or_b64 s[62:63], s[18:19], s[62:63]
	s_andn2_b64 s[18:19], s[60:61], exec
	s_and_b64 s[60:61], s[74:75], exec
	v_mov_b32_e32 v16, 0
	s_or_b64 s[60:61], s[18:19], s[60:61]
.LBB8_172:                              ;   in Loop: Header=BB8_173 Depth=3
	s_or_b64 exec, exec, s[72:73]
	s_and_b64 s[18:19], exec, s[60:61]
	s_or_b64 s[56:57], s[18:19], s[56:57]
	s_andn2_b64 s[18:19], s[58:59], exec
	s_and_b64 s[58:59], s[62:63], exec
	s_or_b64 s[58:59], s[18:19], s[58:59]
	s_andn2_b64 exec, exec, s[56:57]
	s_cbranch_execz .LBB8_178
.LBB8_173:                              ;   Parent Loop BB8_50 Depth=1
                                        ;     Parent Loop BB8_168 Depth=2
                                        ; =>    This Inner Loop Header: Depth=3
	s_sleep 1
	s_waitcnt vmcnt(0) lgkmcnt(0)
	flat_load_dwordx2 v[52:53], v[50:51] glc
	s_or_b64 s[62:63], s[62:63], exec
	s_or_b64 s[60:61], s[60:61], exec
	v_mov_b32_e32 v16, v8
                                        ; implicit-def: $vgpr12
	s_and_saveexec_b64 s[72:73], vcc
	s_cbranch_execz .LBB8_172
; %bb.174:                              ;   in Loop: Header=BB8_173 Depth=3
	s_add_i32 s93, s93, 1
	s_cmpk_lg_i32 s93, 0x2710
	s_cselect_b64 s[78:79], -1, 0
	s_cmpk_eq_i32 s93, 0x2710
	s_mov_b64 s[74:75], -1
	s_mov_b64 s[76:77], -1
                                        ; implicit-def: $vgpr12
	s_cbranch_scc1 .LBB8_176
; %bb.175:                              ;   in Loop: Header=BB8_173 Depth=3
	s_and_saveexec_b64 s[88:89], s[78:79]
	s_cbranch_execz .LBB8_171
	s_branch .LBB8_177
.LBB8_176:                              ;   in Loop: Header=BB8_173 Depth=3
	s_trap 2
	ds_read_b64 v[20:21], v0
	s_andn2_b64 s[78:79], s[78:79], exec
	s_mov_b32 s93, 0
	s_mov_b64 s[76:77], 0
	s_waitcnt vmcnt(0) lgkmcnt(0)
	flat_load_dword v12, v[20:21] glc
	s_waitcnt vmcnt(0) lgkmcnt(0)
	buffer_wbinvl1_vol
	v_cmp_eq_u32_e64 s[18:19], 0, v12
	s_and_b64 s[18:19], s[18:19], exec
	s_or_b64 s[78:79], s[78:79], s[18:19]
	s_and_saveexec_b64 s[88:89], s[78:79]
	s_cbranch_execz .LBB8_171
.LBB8_177:                              ;   in Loop: Header=BB8_173 Depth=3
	s_waitcnt vmcnt(0) lgkmcnt(0)
	v_add_co_u32_e64 v20, s[18:19], 8, v52
	v_addc_co_u32_e64 v21, s[18:19], 0, v53, s[18:19]
	v_cmp_ge_u64_e64 s[18:19], v[20:21], v[18:19]
	s_or_b64 s[76:77], s[76:77], exec
	s_orn2_b64 s[74:75], s[18:19], exec
	s_branch .LBB8_171
.LBB8_178:                              ;   in Loop: Header=BB8_168 Depth=2
	s_or_b64 exec, exec, s[56:57]
	s_xor_b64 s[18:19], s[58:59], -1
	s_and_saveexec_b64 s[56:57], s[18:19]
	s_xor_b64 s[18:19], exec, s[56:57]
	s_cbranch_execz .LBB8_180
; %bb.179:                              ;   in Loop: Header=BB8_168 Depth=2
	v_mov_b32_e32 v16, 1
	s_waitcnt lgkmcnt(0)
	ds_write_b32 v0, v12
	s_trap 2
.LBB8_180:                              ;   in Loop: Header=BB8_168 Depth=2
	s_or_b64 exec, exec, s[18:19]
	v_mov_b32_e32 v8, v16
.LBB8_181:                              ;   in Loop: Header=BB8_168 Depth=2
	s_or_b64 exec, exec, s[46:47]
	s_and_saveexec_b64 s[18:19], s[8:9]
	s_cbranch_execz .LBB8_183
; %bb.182:                              ;   in Loop: Header=BB8_168 Depth=2
	v_and_b32_e32 v9, 7, v15
	v_and_b32_e32 v20, 0x7ffffff8, v15
	v_mad_u64_u32 v[15:16], s[46:47], v9, 24, v[13:14]
	buffer_load_dword v9, off, s[0:3], s32 offset:64 ; 4-byte Folded Reload
	v_mov_b32_e32 v21, v17
	v_cmp_eq_u64_e32 vcc, s[42:43], v[20:21]
	s_waitcnt vmcnt(0)
	v_cndmask_b32_e32 v9, v9, v54, vcc
	v_lshlrev_b32_e32 v20, 4, v9
	v_ashrrev_i32_e32 v21, 31, v20
	flat_store_dwordx2 v[15:16], v[20:21] offset:8
	s_waitcnt vmcnt(0)
.LBB8_183:                              ;   in Loop: Header=BB8_168 Depth=2
	s_or_b64 exec, exec, s[18:19]
	v_mov_b32_e32 v15, v18
	v_mov_b32_e32 v16, v19
.LBB8_184:                              ;   in Loop: Header=BB8_168 Depth=2
	s_or_b64 exec, exec, s[44:45]
	s_and_saveexec_b64 s[18:19], s[10:11]
	s_cbranch_execz .LBB8_203
; %bb.185:                              ;   in Loop: Header=BB8_168 Depth=2
	s_and_saveexec_b64 s[44:45], s[28:29]
	s_xor_b64 s[44:45], exec, s[44:45]
	s_cbranch_execz .LBB8_200
; %bb.186:                              ;   in Loop: Header=BB8_168 Depth=2
	s_and_saveexec_b64 s[46:47], s[12:13]
	s_cbranch_execz .LBB8_199
; %bb.187:                              ;   in Loop: Header=BB8_168 Depth=2
	s_mov_b64 s[58:59], exec
	v_mbcnt_lo_u32_b32 v9, s58, 0
	v_mbcnt_hi_u32_b32 v9, s59, v9
	v_cmp_eq_u32_e32 vcc, 0, v9
	s_waitcnt vmcnt(0) lgkmcnt(0)
	buffer_wbinvl1_vol
	s_and_saveexec_b64 s[56:57], vcc
	s_cbranch_execz .LBB8_189
; %bb.188:                              ;   in Loop: Header=BB8_168 Depth=2
	s_bcnt1_i32_b64 s58, s[58:59]
	v_mov_b32_e32 v18, s58
	v_mov_b32_e32 v19, v17
	ds_add_u64 v0, v[18:19]
	s_trap 2
.LBB8_189:                              ;   in Loop: Header=BB8_168 Depth=2
	s_or_b64 exec, exec, s[56:57]
	s_trap 2
	ds_read_b64 v[18:19], v0
	s_waitcnt lgkmcnt(0)
	buffer_load_dword v9, off, s[0:3], s32 offset:68 ; 4-byte Folded Reload
	s_waitcnt vmcnt(0)
	v_add_co_u32_e32 v2, vcc, v2, v9
	v_addc_co_u32_e32 v3, vcc, 0, v3, vcc
	v_cmp_lt_u64_e32 vcc, v[18:19], v[2:3]
	s_and_saveexec_b64 s[56:57], vcc
	s_cbranch_execz .LBB8_198
; %bb.190:                              ;   in Loop: Header=BB8_168 Depth=2
	s_mov_b32 s78, 0
	s_mov_b64 s[58:59], 0
                                        ; implicit-def: $sgpr60_sgpr61
                                        ; implicit-def: $sgpr62_sgpr63
	s_branch .LBB8_192
.LBB8_191:                              ;   in Loop: Header=BB8_192 Depth=3
	s_or_b64 exec, exec, s[74:75]
	s_and_b64 s[72:73], exec, s[76:77]
	s_or_b64 s[58:59], s[72:73], s[58:59]
	s_andn2_b64 s[60:61], s[60:61], exec
	s_and_b64 s[72:73], s[62:63], exec
	s_or_b64 s[60:61], s[60:61], s[72:73]
	s_andn2_b64 exec, exec, s[58:59]
	s_cbranch_execz .LBB8_196
.LBB8_192:                              ;   Parent Loop BB8_50 Depth=1
                                        ;     Parent Loop BB8_168 Depth=2
                                        ; =>    This Inner Loop Header: Depth=3
	s_add_i32 s78, s78, 1
	s_cmpk_lg_i32 s78, 0x2710
	s_cselect_b64 s[72:73], -1, 0
	s_and_b64 vcc, exec, s[72:73]
	s_cbranch_vccz .LBB8_194
; %bb.193:                              ;   in Loop: Header=BB8_192 Depth=3
	s_mov_b64 s[76:77], -1
	s_or_b64 s[62:63], s[62:63], exec
	s_and_saveexec_b64 s[74:75], s[72:73]
	s_cbranch_execz .LBB8_191
	s_branch .LBB8_195
.LBB8_194:                              ;   in Loop: Header=BB8_192 Depth=3
	s_trap 2
	ds_read_b64 v[18:19], v0
	s_andn2_b64 s[72:73], s[72:73], exec
	s_mov_b32 s78, 0
	s_waitcnt lgkmcnt(0)
	flat_load_dword v9, v[18:19] glc
	s_waitcnt vmcnt(0) lgkmcnt(0)
	buffer_wbinvl1_vol
	v_cmp_eq_u32_e32 vcc, 0, v9
	s_and_b64 s[74:75], vcc, exec
	s_or_b64 s[72:73], s[72:73], s[74:75]
	s_mov_b64 s[76:77], -1
	s_or_b64 s[62:63], s[62:63], exec
	s_and_saveexec_b64 s[74:75], s[72:73]
	s_cbranch_execz .LBB8_191
.LBB8_195:                              ;   in Loop: Header=BB8_192 Depth=3
	s_sleep 1
	s_trap 2
	ds_read_b64 v[18:19], v0
	s_waitcnt lgkmcnt(0)
	s_andn2_b64 s[62:63], s[62:63], exec
	v_cmp_ge_u64_e32 vcc, v[18:19], v[2:3]
	s_orn2_b64 s[76:77], vcc, exec
	s_branch .LBB8_191
.LBB8_196:                              ;   in Loop: Header=BB8_168 Depth=2
	s_or_b64 exec, exec, s[58:59]
	s_and_saveexec_b64 s[58:59], s[60:61]
	s_xor_b64 s[58:59], exec, s[58:59]
	s_cbranch_execz .LBB8_198
; %bb.197:                              ;   in Loop: Header=BB8_168 Depth=2
	v_mov_b32_e32 v9, 1
	ds_write_b32 v0, v9
	s_trap 2
.LBB8_198:                              ;   in Loop: Header=BB8_168 Depth=2
	s_or_b64 exec, exec, s[56:57]
	;;#ASMSTART
	s_wakeup
	;;#ASMEND
.LBB8_199:                              ;   in Loop: Header=BB8_168 Depth=2
	s_or_b64 exec, exec, s[46:47]
.LBB8_200:                              ;   in Loop: Header=BB8_168 Depth=2
	s_andn2_saveexec_b64 s[44:45], s[44:45]
	s_cbranch_execz .LBB8_202
; %bb.201:                              ;   in Loop: Header=BB8_168 Depth=2
	s_waitcnt vmcnt(0) lgkmcnt(0)
	buffer_wbinvl1_vol
	s_barrier
.LBB8_202:                              ;   in Loop: Header=BB8_168 Depth=2
	s_or_b64 exec, exec, s[44:45]
.LBB8_203:                              ;   in Loop: Header=BB8_168 Depth=2
	s_or_b64 exec, exec, s[18:19]
	v_add_u32_e32 v18, 1, v56
	v_mov_b32_e32 v46, v4
	s_and_saveexec_b64 s[44:45], s[16:17]
	s_cbranch_execnz .LBB8_212
; %bb.204:                              ;   in Loop: Header=BB8_168 Depth=2
	s_or_b64 exec, exec, s[44:45]
	s_and_saveexec_b64 s[18:19], s[10:11]
	s_cbranch_execnz .LBB8_245
.LBB8_205:                              ;   in Loop: Header=BB8_168 Depth=2
	s_or_b64 exec, exec, s[18:19]
	s_and_saveexec_b64 s[18:19], s[14:15]
	s_cbranch_execz .LBB8_207
.LBB8_206:                              ;   in Loop: Header=BB8_168 Depth=2
	v_add_co_u32_e32 v38, vcc, 1, v38
	v_addc_co_u32_e32 v39, vcc, 0, v39, vcc
	flat_store_dwordx2 v[48:49], v[38:39]
.LBB8_207:                              ;   in Loop: Header=BB8_168 Depth=2
	s_or_b64 exec, exec, s[18:19]
	s_waitcnt vmcnt(0) lgkmcnt(0)
	v_and_b32_e32 v11, 0x7ffffff8, v56
	v_mov_b32_e32 v12, v17
	v_cmp_eq_u64_e32 vcc, s[42:43], v[11:12]
	v_cmp_lt_i32_e64 s[18:19], v46, v54
	s_and_b64 s[18:19], vcc, s[18:19]
	s_and_saveexec_b64 s[44:45], s[18:19]
	s_cbranch_execz .LBB8_210
; %bb.208:                              ;   in Loop: Header=BB8_168 Depth=2
	v_and_b32_e32 v9, 7, v10
	v_mul_lo_u32 v11, v54, v9
	v_ashrrev_i32_e32 v47, 31, v46
	v_lshlrev_b64 v[19:20], 4, v[46:47]
	s_mov_b64 s[46:47], 0
	v_ashrrev_i32_e32 v12, 31, v11
	v_lshlrev_b64 v[11:12], 4, v[11:12]
	v_add_co_u32_e32 v9, vcc, v19, v11
	v_addc_co_u32_e32 v11, vcc, v20, v12, vcc
	v_add_co_u32_e32 v21, vcc, v36, v9
	v_addc_co_u32_e32 v22, vcc, v37, v11, vcc
.LBB8_209:                              ;   Parent Loop BB8_50 Depth=1
                                        ;     Parent Loop BB8_168 Depth=2
                                        ; =>    This Inner Loop Header: Depth=3
	v_mov_b32_e32 v19, v17
	v_mov_b32_e32 v20, v18
	v_add_u32_e32 v46, v46, v1
	global_store_dwordx4 v[21:22], v[17:20], off
	v_add_co_u32_e32 v21, vcc, v21, v40
	v_cmp_ge_i32_e64 s[18:19], v46, v54
	s_or_b64 s[46:47], s[18:19], s[46:47]
	v_addc_co_u32_e32 v22, vcc, v22, v41, vcc
	s_andn2_b64 exec, exec, s[46:47]
	s_cbranch_execnz .LBB8_209
.LBB8_210:                              ;   in Loop: Header=BB8_168 Depth=2
	s_or_b64 exec, exec, s[44:45]
	v_add_co_u32_e32 v34, vcc, 1, v34
	v_addc_co_u32_e32 v35, vcc, 0, v35, vcc
	s_add_i32 s18, s92, 1
	v_add_co_u32_e32 v56, vcc, 1, v56
	v_addc_co_u32_e32 v57, vcc, 0, v57, vcc
	s_cmp_eq_u32 s92, s91
	v_add_u16_e32 v10, 1, v10
	s_cbranch_scc1 .LBB8_264
; %bb.211:                              ;   in Loop: Header=BB8_168 Depth=2
	s_mov_b32 s92, s18
	s_branch .LBB8_168
.LBB8_212:                              ;   in Loop: Header=BB8_168 Depth=2
	s_waitcnt vmcnt(0) lgkmcnt(0)
	v_ashrrev_i32_e32 v9, 31, v11
	v_mad_u64_u32 v[60:61], s[18:19], v0, v11, v[58:59]
	v_mul_lo_u32 v12, v27, v11
	v_mul_lo_u32 v9, v0, v9
	v_and_b32_e32 v11, 7, v34
	v_mul_lo_u32 v11, v11, v54
	v_add_u32_e32 v25, 1, v34
	v_add3_u32 v61, v12, v61, v9
	v_and_b32_e32 v9, 7, v56
	v_mul_lo_u32 v19, v9, v54
	v_ashrrev_i32_e32 v12, 31, v11
	v_lshlrev_b64 v[11:12], 4, v[11:12]
	s_mov_b64 s[46:47], 0
	v_ashrrev_i32_e32 v20, 31, v19
	v_add_co_u32_e32 v11, vcc, v32, v11
	v_lshlrev_b64 v[19:20], 4, v[19:20]
	v_addc_co_u32_e32 v55, vcc, v33, v12, vcc
	v_add_co_u32_e32 v26, vcc, v36, v19
	v_addc_co_u32_e32 v28, vcc, v37, v20, vcc
	v_mov_b32_e32 v12, v7
	v_mov_b32_e32 v46, v4
	s_branch .LBB8_214
.LBB8_213:                              ;   in Loop: Header=BB8_214 Depth=3
	v_add_co_u32_e32 v60, vcc, v60, v31
	v_addc_co_u32_e32 v61, vcc, 0, v61, vcc
	v_sub_u32_e32 v12, v12, v31
	v_cmp_gt_i32_e32 vcc, 1, v12
	s_or_b64 s[46:47], vcc, s[46:47]
	v_add_u32_e32 v46, v46, v1
	s_andn2_b64 exec, exec, s[46:47]
	s_cbranch_execz .LBB8_244
.LBB8_214:                              ;   Parent Loop BB8_50 Depth=1
                                        ;     Parent Loop BB8_168 Depth=2
                                        ; =>    This Loop Header: Depth=3
                                        ;         Child Loop BB8_218 Depth 4
	v_ashrrev_i32_e32 v47, 31, v46
	v_lshlrev_b64 v[62:63], 4, v[46:47]
	v_add_co_u32_e32 v29, vcc, v11, v62
	v_addc_co_u32_e32 v30, vcc, v55, v63, vcc
	global_load_dwordx4 v[19:22], v[29:30], off glc slc
	v_cmp_eq_u32_e32 vcc, 0, v8
	s_and_saveexec_b64 s[56:57], vcc
	s_cbranch_execz .LBB8_226
; %bb.215:                              ;   in Loop: Header=BB8_214 Depth=3
	s_waitcnt vmcnt(0)
	v_cmp_ne_u32_e32 vcc, v25, v20
	v_cmp_ne_u32_e64 s[18:19], v25, v22
	s_or_b64 s[18:19], vcc, s[18:19]
	v_mov_b32_e32 v8, 0
	s_and_saveexec_b64 s[58:59], s[18:19]
	s_cbranch_execz .LBB8_225
; %bb.216:                              ;   in Loop: Header=BB8_214 Depth=3
	s_mov_b32 s78, 1
	s_mov_b64 s[62:63], 0
                                        ; implicit-def: $sgpr60_sgpr61
                                        ; implicit-def: $sgpr72_sgpr73
	s_branch .LBB8_218
.LBB8_217:                              ;   in Loop: Header=BB8_218 Depth=4
	s_or_b64 exec, exec, s[76:77]
	s_and_b64 s[18:19], exec, s[18:19]
	s_or_b64 s[62:63], s[18:19], s[62:63]
	s_andn2_b64 s[18:19], s[60:61], exec
	s_and_b64 s[60:61], s[72:73], exec
	s_or_b64 s[60:61], s[18:19], s[60:61]
	s_andn2_b64 exec, exec, s[62:63]
	s_cbranch_execz .LBB8_222
.LBB8_218:                              ;   Parent Loop BB8_50 Depth=1
                                        ;     Parent Loop BB8_168 Depth=2
                                        ;       Parent Loop BB8_214 Depth=3
                                        ; =>      This Inner Loop Header: Depth=4
	global_load_dwordx4 v[19:22], v[29:30], off glc slc
	s_add_i32 s78, s78, 1
	s_mov_b64 s[18:19], -1
	s_cmpk_lg_i32 s78, 0x2710
	s_mov_b64 s[74:75], -1
                                        ; implicit-def: $vgpr47
	s_cbranch_scc0 .LBB8_220
; %bb.219:                              ;   in Loop: Header=BB8_218 Depth=4
	s_or_b64 s[72:73], s[72:73], exec
	s_and_saveexec_b64 s[76:77], s[74:75]
	s_cbranch_execz .LBB8_217
	s_branch .LBB8_221
.LBB8_220:                              ;   in Loop: Header=BB8_218 Depth=4
	s_trap 2
	ds_read_b64 v[8:9], v0
	s_mov_b32 s78, 0
	s_waitcnt vmcnt(0) lgkmcnt(0)
	flat_load_dword v47, v[8:9] glc
	s_waitcnt vmcnt(0) lgkmcnt(0)
	buffer_wbinvl1_vol
	v_cmp_eq_u32_e32 vcc, 0, v47
	s_orn2_b64 s[74:75], vcc, exec
	s_or_b64 s[72:73], s[72:73], exec
	s_and_saveexec_b64 s[76:77], s[74:75]
	s_cbranch_execz .LBB8_217
.LBB8_221:                              ;   in Loop: Header=BB8_218 Depth=4
	s_waitcnt vmcnt(0)
	v_cmp_eq_u32_e32 vcc, v25, v20
	v_cmp_eq_u32_e64 s[18:19], v25, v22
	s_and_b64 s[18:19], vcc, s[18:19]
	s_andn2_b64 s[72:73], s[72:73], exec
	s_orn2_b64 s[18:19], s[18:19], exec
	s_branch .LBB8_217
.LBB8_222:                              ;   in Loop: Header=BB8_214 Depth=3
	s_or_b64 exec, exec, s[62:63]
	v_mov_b32_e32 v8, 0
	s_and_saveexec_b64 s[18:19], s[60:61]
	s_xor_b64 s[18:19], exec, s[18:19]
	s_cbranch_execz .LBB8_224
; %bb.223:                              ;   in Loop: Header=BB8_214 Depth=3
	v_mov_b32_e32 v8, 1
	ds_write_b32 v0, v47
	s_trap 2
.LBB8_224:                              ;   in Loop: Header=BB8_214 Depth=3
	s_or_b64 exec, exec, s[18:19]
.LBB8_225:                              ;   in Loop: Header=BB8_214 Depth=3
	s_or_b64 exec, exec, s[58:59]
.LBB8_226:                              ;   in Loop: Header=BB8_214 Depth=3
	s_or_b64 exec, exec, s[56:57]
	v_add_co_u32_e32 v29, vcc, v26, v62
	v_addc_co_u32_e32 v30, vcc, v28, v63, vcc
	v_cmp_lt_u32_e32 vcc, 7, v12
	s_waitcnt vmcnt(0)
	v_mov_b32_e32 v20, v18
	v_mov_b32_e32 v22, v18
	s_cmp_lg_u64 vcc, exec
	s_mov_b64 s[18:19], -1
	global_store_dwordx4 v[29:30], v[19:22], off
	s_cbranch_scc0 .LBB8_236
; %bb.227:                              ;   in Loop: Header=BB8_214 Depth=3
	v_cmp_ne_u32_e64 s[18:19], 1, v12
	flat_store_byte v[60:61], v19
	s_and_saveexec_b64 s[56:57], s[18:19]
	s_cbranch_execnz .LBB8_238
; %bb.228:                              ;   in Loop: Header=BB8_214 Depth=3
	s_or_b64 exec, exec, s[56:57]
	v_cmp_lt_u32_e64 s[18:19], 2, v12
	s_and_saveexec_b64 s[56:57], s[18:19]
	s_cbranch_execnz .LBB8_239
.LBB8_229:                              ;   in Loop: Header=BB8_214 Depth=3
	s_or_b64 exec, exec, s[56:57]
	v_cmp_lt_u32_e64 s[18:19], 3, v12
	s_and_saveexec_b64 s[56:57], s[18:19]
	s_cbranch_execnz .LBB8_240
.LBB8_230:                              ;   in Loop: Header=BB8_214 Depth=3
	s_or_b64 exec, exec, s[56:57]
	v_cmp_lt_u32_e64 s[18:19], 4, v12
	s_and_saveexec_b64 s[56:57], s[18:19]
	s_cbranch_execnz .LBB8_241
.LBB8_231:                              ;   in Loop: Header=BB8_214 Depth=3
	s_or_b64 exec, exec, s[56:57]
	v_cmp_lt_u32_e64 s[18:19], 5, v12
	s_and_saveexec_b64 s[56:57], s[18:19]
	s_cbranch_execnz .LBB8_242
.LBB8_232:                              ;   in Loop: Header=BB8_214 Depth=3
	s_or_b64 exec, exec, s[56:57]
	v_cmp_lt_u32_e64 s[18:19], 6, v12
	s_and_saveexec_b64 s[56:57], s[18:19]
	s_cbranch_execnz .LBB8_243
.LBB8_233:                              ;   in Loop: Header=BB8_214 Depth=3
	s_or_b64 exec, exec, s[56:57]
	s_and_saveexec_b64 s[18:19], vcc
	s_cbranch_execz .LBB8_235
.LBB8_234:                              ;   in Loop: Header=BB8_214 Depth=3
	v_lshrrev_b32_e32 v9, 24, v21
	flat_store_byte v[60:61], v9 offset:7
.LBB8_235:                              ;   in Loop: Header=BB8_214 Depth=3
	s_or_b64 exec, exec, s[18:19]
	s_mov_b64 s[18:19], 0
.LBB8_236:                              ;   in Loop: Header=BB8_214 Depth=3
	s_and_b64 vcc, exec, s[18:19]
	s_cbranch_vccz .LBB8_213
; %bb.237:                              ;   in Loop: Header=BB8_214 Depth=3
	v_mov_b32_e32 v20, v21
	global_store_dwordx2 v[60:61], v[19:20], off
	s_branch .LBB8_213
.LBB8_238:                              ;   in Loop: Header=BB8_214 Depth=3
	v_lshrrev_b32_e32 v9, 8, v19
	flat_store_byte v[60:61], v9 offset:1
	s_or_b64 exec, exec, s[56:57]
	v_cmp_lt_u32_e64 s[18:19], 2, v12
	s_and_saveexec_b64 s[56:57], s[18:19]
	s_cbranch_execz .LBB8_229
.LBB8_239:                              ;   in Loop: Header=BB8_214 Depth=3
	flat_store_byte_d16_hi v[60:61], v19 offset:2
	s_or_b64 exec, exec, s[56:57]
	v_cmp_lt_u32_e64 s[18:19], 3, v12
	s_and_saveexec_b64 s[56:57], s[18:19]
	s_cbranch_execz .LBB8_230
.LBB8_240:                              ;   in Loop: Header=BB8_214 Depth=3
	v_lshrrev_b32_e32 v9, 24, v19
	flat_store_byte v[60:61], v9 offset:3
	s_or_b64 exec, exec, s[56:57]
	v_cmp_lt_u32_e64 s[18:19], 4, v12
	s_and_saveexec_b64 s[56:57], s[18:19]
	s_cbranch_execz .LBB8_231
.LBB8_241:                              ;   in Loop: Header=BB8_214 Depth=3
	flat_store_byte v[60:61], v21 offset:4
	s_or_b64 exec, exec, s[56:57]
	v_cmp_lt_u32_e64 s[18:19], 5, v12
	s_and_saveexec_b64 s[56:57], s[18:19]
	s_cbranch_execz .LBB8_232
.LBB8_242:                              ;   in Loop: Header=BB8_214 Depth=3
	v_lshrrev_b32_e32 v9, 8, v21
	flat_store_byte v[60:61], v9 offset:5
	s_or_b64 exec, exec, s[56:57]
	v_cmp_lt_u32_e64 s[18:19], 6, v12
	s_and_saveexec_b64 s[56:57], s[18:19]
	s_cbranch_execz .LBB8_233
.LBB8_243:                              ;   in Loop: Header=BB8_214 Depth=3
	flat_store_byte_d16_hi v[60:61], v21 offset:6
	s_or_b64 exec, exec, s[56:57]
	s_and_saveexec_b64 s[18:19], vcc
	s_cbranch_execnz .LBB8_234
	s_branch .LBB8_235
.LBB8_244:                              ;   in Loop: Header=BB8_168 Depth=2
	s_or_b64 exec, exec, s[46:47]
	s_or_b64 exec, exec, s[44:45]
	s_and_saveexec_b64 s[18:19], s[10:11]
	s_cbranch_execz .LBB8_205
.LBB8_245:                              ;   in Loop: Header=BB8_168 Depth=2
	s_and_saveexec_b64 s[44:45], s[28:29]
	s_xor_b64 s[44:45], exec, s[44:45]
	s_cbranch_execz .LBB8_260
; %bb.246:                              ;   in Loop: Header=BB8_168 Depth=2
	s_and_saveexec_b64 s[46:47], s[12:13]
	s_cbranch_execz .LBB8_259
; %bb.247:                              ;   in Loop: Header=BB8_168 Depth=2
	s_mov_b64 s[58:59], exec
	v_mbcnt_lo_u32_b32 v9, s58, 0
	v_mbcnt_hi_u32_b32 v9, s59, v9
	v_cmp_eq_u32_e32 vcc, 0, v9
	s_waitcnt vmcnt(0) lgkmcnt(0)
	buffer_wbinvl1_vol
	s_and_saveexec_b64 s[56:57], vcc
	s_cbranch_execz .LBB8_249
; %bb.248:                              ;   in Loop: Header=BB8_168 Depth=2
	s_bcnt1_i32_b64 s58, s[58:59]
	v_mov_b32_e32 v11, s58
	v_mov_b32_e32 v12, v17
	ds_add_u64 v0, v[11:12]
	s_trap 2
.LBB8_249:                              ;   in Loop: Header=BB8_168 Depth=2
	s_or_b64 exec, exec, s[56:57]
	s_trap 2
	ds_read_b64 v[11:12], v0
	s_waitcnt lgkmcnt(0)
	buffer_load_dword v9, off, s[0:3], s32 offset:68 ; 4-byte Folded Reload
	s_waitcnt vmcnt(0)
	v_add_co_u32_e32 v2, vcc, v2, v9
	v_addc_co_u32_e32 v3, vcc, 0, v3, vcc
	v_cmp_lt_u64_e32 vcc, v[11:12], v[2:3]
	s_and_saveexec_b64 s[56:57], vcc
	s_cbranch_execz .LBB8_258
; %bb.250:                              ;   in Loop: Header=BB8_168 Depth=2
	s_mov_b32 s78, 0
	s_mov_b64 s[58:59], 0
                                        ; implicit-def: $sgpr60_sgpr61
                                        ; implicit-def: $sgpr62_sgpr63
	s_branch .LBB8_252
.LBB8_251:                              ;   in Loop: Header=BB8_252 Depth=3
	s_or_b64 exec, exec, s[74:75]
	s_and_b64 s[72:73], exec, s[76:77]
	s_or_b64 s[58:59], s[72:73], s[58:59]
	s_andn2_b64 s[60:61], s[60:61], exec
	s_and_b64 s[72:73], s[62:63], exec
	s_or_b64 s[60:61], s[60:61], s[72:73]
	s_andn2_b64 exec, exec, s[58:59]
	s_cbranch_execz .LBB8_256
.LBB8_252:                              ;   Parent Loop BB8_50 Depth=1
                                        ;     Parent Loop BB8_168 Depth=2
                                        ; =>    This Inner Loop Header: Depth=3
	s_add_i32 s78, s78, 1
	s_cmpk_lg_i32 s78, 0x2710
	s_cselect_b64 s[72:73], -1, 0
	s_and_b64 vcc, exec, s[72:73]
	s_cbranch_vccz .LBB8_254
; %bb.253:                              ;   in Loop: Header=BB8_252 Depth=3
	s_mov_b64 s[76:77], -1
	s_or_b64 s[62:63], s[62:63], exec
	s_and_saveexec_b64 s[74:75], s[72:73]
	s_cbranch_execz .LBB8_251
	s_branch .LBB8_255
.LBB8_254:                              ;   in Loop: Header=BB8_252 Depth=3
	s_trap 2
	ds_read_b64 v[11:12], v0
	s_andn2_b64 s[72:73], s[72:73], exec
	s_mov_b32 s78, 0
	s_waitcnt lgkmcnt(0)
	flat_load_dword v9, v[11:12] glc
	s_waitcnt vmcnt(0) lgkmcnt(0)
	buffer_wbinvl1_vol
	v_cmp_eq_u32_e32 vcc, 0, v9
	s_and_b64 s[74:75], vcc, exec
	s_or_b64 s[72:73], s[72:73], s[74:75]
	s_mov_b64 s[76:77], -1
	s_or_b64 s[62:63], s[62:63], exec
	s_and_saveexec_b64 s[74:75], s[72:73]
	s_cbranch_execz .LBB8_251
.LBB8_255:                              ;   in Loop: Header=BB8_252 Depth=3
	s_sleep 1
	s_trap 2
	ds_read_b64 v[11:12], v0
	s_waitcnt lgkmcnt(0)
	s_andn2_b64 s[62:63], s[62:63], exec
	v_cmp_ge_u64_e32 vcc, v[11:12], v[2:3]
	s_orn2_b64 s[76:77], vcc, exec
	s_branch .LBB8_251
.LBB8_256:                              ;   in Loop: Header=BB8_168 Depth=2
	s_or_b64 exec, exec, s[58:59]
	s_and_saveexec_b64 s[58:59], s[60:61]
	s_xor_b64 s[58:59], exec, s[58:59]
	s_cbranch_execz .LBB8_258
; %bb.257:                              ;   in Loop: Header=BB8_168 Depth=2
	v_mov_b32_e32 v9, 1
	ds_write_b32 v0, v9
	s_trap 2
.LBB8_258:                              ;   in Loop: Header=BB8_168 Depth=2
	s_or_b64 exec, exec, s[56:57]
	;;#ASMSTART
	s_wakeup
	;;#ASMEND
.LBB8_259:                              ;   in Loop: Header=BB8_168 Depth=2
	s_or_b64 exec, exec, s[46:47]
.LBB8_260:                              ;   in Loop: Header=BB8_168 Depth=2
	s_andn2_saveexec_b64 s[44:45], s[44:45]
	s_cbranch_execz .LBB8_262
; %bb.261:                              ;   in Loop: Header=BB8_168 Depth=2
	s_waitcnt vmcnt(0) lgkmcnt(0)
	buffer_wbinvl1_vol
	s_barrier
.LBB8_262:                              ;   in Loop: Header=BB8_168 Depth=2
	s_or_b64 exec, exec, s[44:45]
	s_or_b64 exec, exec, s[18:19]
	s_and_saveexec_b64 s[18:19], s[14:15]
	s_cbranch_execnz .LBB8_206
	s_branch .LBB8_207
.LBB8_263:                              ;   in Loop: Header=BB8_50 Depth=1
	v_mov_b32_e32 v46, v56
	v_mov_b32_e32 v47, v57
	;; [unrolled: 1-line block ×3, first 2 shown]
	v_cmp_lt_i32_e32 vcc, 0, v7
	s_and_saveexec_b64 s[18:19], vcc
	s_cbranch_execnz .LBB8_265
	s_branch .LBB8_298
.LBB8_264:                              ;   in Loop: Header=BB8_50 Depth=1
	buffer_load_dword v9, off, s[0:3], s32 offset:92 ; 4-byte Folded Reload
	buffer_load_dword v10, off, s[0:3], s32 offset:96 ; 4-byte Folded Reload
	;; [unrolled: 1-line block ×4, first 2 shown]
	v_mov_b32_e32 v46, v56
	v_mov_b32_e32 v47, v57
	s_waitcnt vmcnt(0)
	v_mov_b32_e32 v29, v12
	v_mov_b32_e32 v28, v11
	v_cmp_lt_i32_e32 vcc, 0, v7
	s_and_saveexec_b64 s[18:19], vcc
	s_cbranch_execz .LBB8_298
.LBB8_265:                              ;   in Loop: Header=BB8_50 Depth=1
	flat_load_dword v11, v[23:24] offset:4
	s_mov_b64 s[44:45], 0
	v_mov_b32_e32 v56, v4
	s_waitcnt vmcnt(0) lgkmcnt(0)
	v_ashrrev_i32_e32 v12, 31, v11
	v_mad_u64_u32 v[9:10], s[16:17], v0, v11, v[44:45]
	v_mul_lo_u32 v11, v27, v11
	v_mul_lo_u32 v12, v0, v12
	v_add3_u32 v10, v11, v10, v12
	v_lshlrev_b32_e32 v11, 3, v4
	v_add_co_u32_e32 v44, vcc, v9, v11
	buffer_load_dword v9, off, s[0:3], s32 offset:140 ; 4-byte Folded Reload
	v_add_u32_e32 v11, 1, v34
	s_waitcnt vmcnt(0)
	v_addc_co_u32_e32 v45, vcc, v10, v9, vcc
	v_and_b32_e32 v9, 7, v34
	v_mul_lo_u32 v9, v9, v54
	v_ashrrev_i32_e32 v10, 31, v9
	v_lshlrev_b64 v[9:10], 4, v[9:10]
	v_add_co_u32_e32 v9, vcc, v32, v9
	v_addc_co_u32_e32 v10, vcc, v33, v10, vcc
	s_branch .LBB8_267
.LBB8_266:                              ;   in Loop: Header=BB8_267 Depth=2
	v_add_co_u32_e32 v44, vcc, v44, v31
	v_addc_co_u32_e32 v45, vcc, 0, v45, vcc
	v_sub_u32_e32 v7, v7, v31
	v_cmp_gt_i32_e32 vcc, 1, v7
	s_or_b64 s[44:45], vcc, s[44:45]
	v_add_u32_e32 v56, v56, v1
	s_andn2_b64 exec, exec, s[44:45]
	s_cbranch_execz .LBB8_297
.LBB8_267:                              ;   Parent Loop BB8_50 Depth=1
                                        ; =>  This Loop Header: Depth=2
                                        ;       Child Loop BB8_271 Depth 3
	v_ashrrev_i32_e32 v57, 31, v56
	s_waitcnt vmcnt(0)
	v_lshlrev_b64 v[18:19], 4, v[56:57]
	v_add_co_u32_e32 v57, vcc, v9, v18
	v_addc_co_u32_e32 v58, vcc, v10, v19, vcc
	global_load_dwordx4 v[18:21], v[57:58], off glc slc
	v_cmp_eq_u32_e32 vcc, 0, v8
	s_and_saveexec_b64 s[46:47], vcc
	s_cbranch_execz .LBB8_279
; %bb.268:                              ;   in Loop: Header=BB8_267 Depth=2
	s_waitcnt vmcnt(0)
	v_cmp_ne_u32_e32 vcc, v11, v19
	v_cmp_ne_u32_e64 s[16:17], v11, v21
	s_or_b64 s[16:17], vcc, s[16:17]
	v_mov_b32_e32 v8, 0
	s_and_saveexec_b64 s[56:57], s[16:17]
	s_cbranch_execz .LBB8_278
; %bb.269:                              ;   in Loop: Header=BB8_267 Depth=2
	s_mov_b32 s76, 1
	s_mov_b64 s[60:61], 0
                                        ; implicit-def: $sgpr58_sgpr59
                                        ; implicit-def: $sgpr62_sgpr63
	s_branch .LBB8_271
.LBB8_270:                              ;   in Loop: Header=BB8_271 Depth=3
	s_or_b64 exec, exec, s[74:75]
	s_and_b64 s[16:17], exec, s[16:17]
	s_or_b64 s[60:61], s[16:17], s[60:61]
	s_andn2_b64 s[16:17], s[58:59], exec
	s_and_b64 s[58:59], s[62:63], exec
	s_or_b64 s[58:59], s[16:17], s[58:59]
	s_andn2_b64 exec, exec, s[60:61]
	s_cbranch_execz .LBB8_275
.LBB8_271:                              ;   Parent Loop BB8_50 Depth=1
                                        ;     Parent Loop BB8_267 Depth=2
                                        ; =>    This Inner Loop Header: Depth=3
	global_load_dwordx4 v[18:21], v[57:58], off glc slc
	s_add_i32 s76, s76, 1
	s_mov_b64 s[16:17], -1
	s_cmpk_lg_i32 s76, 0x2710
	s_mov_b64 s[72:73], -1
                                        ; implicit-def: $vgpr12
	s_cbranch_scc0 .LBB8_273
; %bb.272:                              ;   in Loop: Header=BB8_271 Depth=3
	s_or_b64 s[62:63], s[62:63], exec
	s_and_saveexec_b64 s[74:75], s[72:73]
	s_cbranch_execz .LBB8_270
	s_branch .LBB8_274
.LBB8_273:                              ;   in Loop: Header=BB8_271 Depth=3
	s_trap 2
	ds_read_b64 v[25:26], v0
	s_mov_b32 s76, 0
	s_waitcnt vmcnt(0) lgkmcnt(0)
	flat_load_dword v12, v[25:26] glc
	s_waitcnt vmcnt(0) lgkmcnt(0)
	buffer_wbinvl1_vol
	v_cmp_eq_u32_e32 vcc, 0, v12
	s_orn2_b64 s[72:73], vcc, exec
	s_or_b64 s[62:63], s[62:63], exec
	s_and_saveexec_b64 s[74:75], s[72:73]
	s_cbranch_execz .LBB8_270
.LBB8_274:                              ;   in Loop: Header=BB8_271 Depth=3
	s_waitcnt vmcnt(0)
	v_cmp_eq_u32_e32 vcc, v11, v19
	v_cmp_eq_u32_e64 s[16:17], v11, v21
	s_and_b64 s[16:17], vcc, s[16:17]
	s_andn2_b64 s[62:63], s[62:63], exec
	s_orn2_b64 s[16:17], s[16:17], exec
	s_branch .LBB8_270
.LBB8_275:                              ;   in Loop: Header=BB8_267 Depth=2
	s_or_b64 exec, exec, s[60:61]
	v_mov_b32_e32 v8, 0
	s_and_saveexec_b64 s[16:17], s[58:59]
	s_xor_b64 s[16:17], exec, s[16:17]
	s_cbranch_execz .LBB8_277
; %bb.276:                              ;   in Loop: Header=BB8_267 Depth=2
	v_mov_b32_e32 v8, 1
	ds_write_b32 v0, v12
	s_trap 2
.LBB8_277:                              ;   in Loop: Header=BB8_267 Depth=2
	s_or_b64 exec, exec, s[16:17]
.LBB8_278:                              ;   in Loop: Header=BB8_267 Depth=2
	s_or_b64 exec, exec, s[56:57]
.LBB8_279:                              ;   in Loop: Header=BB8_267 Depth=2
	s_or_b64 exec, exec, s[46:47]
	v_cmp_lt_u32_e32 vcc, 7, v7
	s_cmp_lg_u64 vcc, exec
	s_mov_b64 s[16:17], -1
	s_cbranch_scc0 .LBB8_289
; %bb.280:                              ;   in Loop: Header=BB8_267 Depth=2
	v_cmp_ne_u32_e64 s[16:17], 1, v7
	s_waitcnt vmcnt(0)
	flat_store_byte v[44:45], v18
	s_and_saveexec_b64 s[46:47], s[16:17]
	s_cbranch_execnz .LBB8_291
; %bb.281:                              ;   in Loop: Header=BB8_267 Depth=2
	s_or_b64 exec, exec, s[46:47]
	v_cmp_lt_u32_e64 s[16:17], 2, v7
	s_and_saveexec_b64 s[46:47], s[16:17]
	s_cbranch_execnz .LBB8_292
.LBB8_282:                              ;   in Loop: Header=BB8_267 Depth=2
	s_or_b64 exec, exec, s[46:47]
	v_cmp_lt_u32_e64 s[16:17], 3, v7
	s_and_saveexec_b64 s[46:47], s[16:17]
	s_cbranch_execnz .LBB8_293
.LBB8_283:                              ;   in Loop: Header=BB8_267 Depth=2
	s_or_b64 exec, exec, s[46:47]
	v_cmp_lt_u32_e64 s[16:17], 4, v7
	s_and_saveexec_b64 s[46:47], s[16:17]
	s_cbranch_execnz .LBB8_294
.LBB8_284:                              ;   in Loop: Header=BB8_267 Depth=2
	s_or_b64 exec, exec, s[46:47]
	v_cmp_lt_u32_e64 s[16:17], 5, v7
	s_and_saveexec_b64 s[46:47], s[16:17]
	s_cbranch_execnz .LBB8_295
.LBB8_285:                              ;   in Loop: Header=BB8_267 Depth=2
	s_or_b64 exec, exec, s[46:47]
	v_cmp_lt_u32_e64 s[16:17], 6, v7
	s_and_saveexec_b64 s[46:47], s[16:17]
	s_cbranch_execnz .LBB8_296
.LBB8_286:                              ;   in Loop: Header=BB8_267 Depth=2
	s_or_b64 exec, exec, s[46:47]
	s_and_saveexec_b64 s[16:17], vcc
	s_cbranch_execz .LBB8_288
.LBB8_287:                              ;   in Loop: Header=BB8_267 Depth=2
	v_lshrrev_b32_e32 v12, 24, v20
	flat_store_byte v[44:45], v12 offset:7
.LBB8_288:                              ;   in Loop: Header=BB8_267 Depth=2
	s_or_b64 exec, exec, s[16:17]
	s_mov_b64 s[16:17], 0
.LBB8_289:                              ;   in Loop: Header=BB8_267 Depth=2
	s_and_b64 vcc, exec, s[16:17]
	s_cbranch_vccz .LBB8_266
; %bb.290:                              ;   in Loop: Header=BB8_267 Depth=2
	s_waitcnt vmcnt(0)
	v_mov_b32_e32 v19, v20
	global_store_dwordx2 v[44:45], v[18:19], off
	s_branch .LBB8_266
.LBB8_291:                              ;   in Loop: Header=BB8_267 Depth=2
	v_lshrrev_b32_e32 v12, 8, v18
	flat_store_byte v[44:45], v12 offset:1
	s_or_b64 exec, exec, s[46:47]
	v_cmp_lt_u32_e64 s[16:17], 2, v7
	s_and_saveexec_b64 s[46:47], s[16:17]
	s_cbranch_execz .LBB8_282
.LBB8_292:                              ;   in Loop: Header=BB8_267 Depth=2
	flat_store_byte_d16_hi v[44:45], v18 offset:2
	s_or_b64 exec, exec, s[46:47]
	v_cmp_lt_u32_e64 s[16:17], 3, v7
	s_and_saveexec_b64 s[46:47], s[16:17]
	s_cbranch_execz .LBB8_283
.LBB8_293:                              ;   in Loop: Header=BB8_267 Depth=2
	v_lshrrev_b32_e32 v12, 24, v18
	flat_store_byte v[44:45], v12 offset:3
	s_or_b64 exec, exec, s[46:47]
	v_cmp_lt_u32_e64 s[16:17], 4, v7
	s_and_saveexec_b64 s[46:47], s[16:17]
	s_cbranch_execz .LBB8_284
.LBB8_294:                              ;   in Loop: Header=BB8_267 Depth=2
	flat_store_byte v[44:45], v20 offset:4
	s_or_b64 exec, exec, s[46:47]
	v_cmp_lt_u32_e64 s[16:17], 5, v7
	s_and_saveexec_b64 s[46:47], s[16:17]
	s_cbranch_execz .LBB8_285
.LBB8_295:                              ;   in Loop: Header=BB8_267 Depth=2
	v_lshrrev_b32_e32 v12, 8, v20
	flat_store_byte v[44:45], v12 offset:5
	s_or_b64 exec, exec, s[46:47]
	v_cmp_lt_u32_e64 s[16:17], 6, v7
	s_and_saveexec_b64 s[46:47], s[16:17]
	s_cbranch_execz .LBB8_286
.LBB8_296:                              ;   in Loop: Header=BB8_267 Depth=2
	flat_store_byte_d16_hi v[44:45], v20 offset:6
	s_or_b64 exec, exec, s[46:47]
	s_and_saveexec_b64 s[16:17], vcc
	s_cbranch_execnz .LBB8_287
	s_branch .LBB8_288
.LBB8_297:                              ;   in Loop: Header=BB8_50 Depth=1
	s_or_b64 exec, exec, s[44:45]
.LBB8_298:                              ;   in Loop: Header=BB8_50 Depth=1
	s_or_b64 exec, exec, s[18:19]
	s_and_saveexec_b64 s[16:17], s[10:11]
	s_cbranch_execnz .LBB8_300
; %bb.299:                              ;   in Loop: Header=BB8_50 Depth=1
	s_or_b64 exec, exec, s[16:17]
	s_and_saveexec_b64 s[16:17], s[14:15]
	s_cbranch_execz .LBB8_49
	s_branch .LBB8_318
.LBB8_300:                              ;   in Loop: Header=BB8_50 Depth=1
	s_and_saveexec_b64 s[18:19], s[28:29]
	s_xor_b64 s[18:19], exec, s[18:19]
	s_cbranch_execz .LBB8_315
; %bb.301:                              ;   in Loop: Header=BB8_50 Depth=1
	s_and_saveexec_b64 s[44:45], s[12:13]
	s_cbranch_execz .LBB8_314
; %bb.302:                              ;   in Loop: Header=BB8_50 Depth=1
	s_mov_b64 s[56:57], exec
	v_mbcnt_lo_u32_b32 v7, s56, 0
	v_mbcnt_hi_u32_b32 v7, s57, v7
	v_cmp_eq_u32_e32 vcc, 0, v7
	s_waitcnt vmcnt(0) lgkmcnt(0)
	buffer_wbinvl1_vol
	s_and_saveexec_b64 s[46:47], vcc
	s_cbranch_execz .LBB8_304
; %bb.303:                              ;   in Loop: Header=BB8_50 Depth=1
	s_bcnt1_i32_b64 s56, s[56:57]
	v_mov_b32_e32 v9, s56
	v_mov_b32_e32 v10, v17
	ds_add_u64 v0, v[9:10]
	s_trap 2
.LBB8_304:                              ;   in Loop: Header=BB8_50 Depth=1
	s_or_b64 exec, exec, s[46:47]
	s_trap 2
	ds_read_b64 v[9:10], v0
	s_waitcnt lgkmcnt(0)
	buffer_load_dword v7, off, s[0:3], s32 offset:68 ; 4-byte Folded Reload
	s_waitcnt vmcnt(0)
	v_add_co_u32_e32 v2, vcc, v2, v7
	v_addc_co_u32_e32 v3, vcc, 0, v3, vcc
	v_cmp_lt_u64_e32 vcc, v[9:10], v[2:3]
	s_and_saveexec_b64 s[46:47], vcc
	s_cbranch_execz .LBB8_313
; %bb.305:                              ;   in Loop: Header=BB8_50 Depth=1
	s_mov_b32 s76, 0
	s_mov_b64 s[56:57], 0
                                        ; implicit-def: $sgpr58_sgpr59
                                        ; implicit-def: $sgpr60_sgpr61
	s_branch .LBB8_307
.LBB8_306:                              ;   in Loop: Header=BB8_307 Depth=2
	s_or_b64 exec, exec, s[72:73]
	s_and_b64 s[62:63], exec, s[74:75]
	s_or_b64 s[56:57], s[62:63], s[56:57]
	s_andn2_b64 s[58:59], s[58:59], exec
	s_and_b64 s[62:63], s[60:61], exec
	s_or_b64 s[58:59], s[58:59], s[62:63]
	s_andn2_b64 exec, exec, s[56:57]
	s_cbranch_execz .LBB8_311
.LBB8_307:                              ;   Parent Loop BB8_50 Depth=1
                                        ; =>  This Inner Loop Header: Depth=2
	s_add_i32 s76, s76, 1
	s_cmpk_lg_i32 s76, 0x2710
	s_cselect_b64 s[62:63], -1, 0
	s_and_b64 vcc, exec, s[62:63]
	s_cbranch_vccz .LBB8_309
; %bb.308:                              ;   in Loop: Header=BB8_307 Depth=2
	s_mov_b64 s[74:75], -1
	s_or_b64 s[60:61], s[60:61], exec
	s_and_saveexec_b64 s[72:73], s[62:63]
	s_cbranch_execz .LBB8_306
	s_branch .LBB8_310
.LBB8_309:                              ;   in Loop: Header=BB8_307 Depth=2
	s_trap 2
	ds_read_b64 v[9:10], v0
	s_andn2_b64 s[62:63], s[62:63], exec
	s_mov_b32 s76, 0
	s_waitcnt lgkmcnt(0)
	flat_load_dword v7, v[9:10] glc
	s_waitcnt vmcnt(0) lgkmcnt(0)
	buffer_wbinvl1_vol
	v_cmp_eq_u32_e32 vcc, 0, v7
	s_and_b64 s[72:73], vcc, exec
	s_or_b64 s[62:63], s[62:63], s[72:73]
	s_mov_b64 s[74:75], -1
	s_or_b64 s[60:61], s[60:61], exec
	s_and_saveexec_b64 s[72:73], s[62:63]
	s_cbranch_execz .LBB8_306
.LBB8_310:                              ;   in Loop: Header=BB8_307 Depth=2
	s_sleep 1
	s_trap 2
	ds_read_b64 v[9:10], v0
	s_waitcnt lgkmcnt(0)
	s_andn2_b64 s[60:61], s[60:61], exec
	v_cmp_ge_u64_e32 vcc, v[9:10], v[2:3]
	s_orn2_b64 s[74:75], vcc, exec
	s_branch .LBB8_306
.LBB8_311:                              ;   in Loop: Header=BB8_50 Depth=1
	s_or_b64 exec, exec, s[56:57]
	s_and_saveexec_b64 s[56:57], s[58:59]
	s_xor_b64 s[56:57], exec, s[56:57]
	s_cbranch_execz .LBB8_313
; %bb.312:                              ;   in Loop: Header=BB8_50 Depth=1
	v_mov_b32_e32 v7, 1
	ds_write_b32 v0, v7
	s_trap 2
.LBB8_313:                              ;   in Loop: Header=BB8_50 Depth=1
	s_or_b64 exec, exec, s[46:47]
	;;#ASMSTART
	s_wakeup
	;;#ASMEND
.LBB8_314:                              ;   in Loop: Header=BB8_50 Depth=1
	s_or_b64 exec, exec, s[44:45]
.LBB8_315:                              ;   in Loop: Header=BB8_50 Depth=1
	s_andn2_saveexec_b64 s[18:19], s[18:19]
	s_cbranch_execz .LBB8_317
; %bb.316:                              ;   in Loop: Header=BB8_50 Depth=1
	s_waitcnt vmcnt(0) lgkmcnt(0)
	buffer_wbinvl1_vol
	s_barrier
.LBB8_317:                              ;   in Loop: Header=BB8_50 Depth=1
	s_or_b64 exec, exec, s[18:19]
	s_or_b64 exec, exec, s[16:17]
	s_and_saveexec_b64 s[16:17], s[14:15]
	s_cbranch_execz .LBB8_49
.LBB8_318:                              ;   in Loop: Header=BB8_50 Depth=1
	v_add_co_u32_e32 v38, vcc, 1, v38
	v_addc_co_u32_e32 v39, vcc, 0, v39, vcc
	flat_store_dwordx2 v[48:49], v[38:39]
	s_branch .LBB8_49
.LBB8_319:
	s_or_b64 exec, exec, s[26:27]
	buffer_load_dword v31, off, s[0:3], s32 offset:164 ; 4-byte Folded Reload
	buffer_load_dword v10, off, s[0:3], s32 offset:168 ; 4-byte Folded Reload
	;; [unrolled: 1-line block ×5, first 2 shown]
	s_or_b64 exec, exec, s[24:25]
	s_and_saveexec_b64 s[6:7], s[22:23]
	s_cbranch_execz .LBB8_46
.LBB8_320:
	s_waitcnt vmcnt(0) lgkmcnt(0)
	flat_store_dwordx2 v[20:21], v[38:39] offset:104
	s_or_b64 exec, exec, s[6:7]
	s_and_saveexec_b64 s[6:7], s[4:5]
	s_cbranch_execz .LBB8_47
.LBB8_321:
	s_waitcnt vmcnt(0) lgkmcnt(0)
	flat_store_dwordx2 v[10:11], v[15:16] offset:104
	s_or_b64 exec, exec, s[6:7]
	v_cmp_ne_u32_e32 vcc, 64, v1
	s_and_saveexec_b64 s[4:5], vcc
	s_cbranch_execz .LBB8_339
.LBB8_322:
	buffer_load_dword v0, off, s[0:3], s32 offset:160 ; 4-byte Folded Reload
	s_waitcnt vmcnt(0)
	v_cmp_ne_u32_sdwa s[6:7], v1, v0 src0_sel:DWORD src1_sel:WORD_0
	s_and_saveexec_b64 s[8:9], s[6:7]
	s_xor_b64 s[6:7], exec, s[8:9]
	s_cbranch_execz .LBB8_337
; %bb.323:
	v_and_b32_e32 v0, 63, v31
	v_cmp_eq_u32_e32 vcc, 0, v0
	s_and_saveexec_b64 s[8:9], vcc
	s_cbranch_execz .LBB8_336
; %bb.324:
	s_mov_b64 s[12:13], exec
	v_mbcnt_lo_u32_b32 v0, s12, 0
	v_mbcnt_hi_u32_b32 v0, s13, v0
	v_cmp_eq_u32_e32 vcc, 0, v0
	s_waitcnt lgkmcnt(0)
	buffer_wbinvl1_vol
	s_and_saveexec_b64 s[10:11], vcc
	s_cbranch_execz .LBB8_326
; %bb.325:
	s_bcnt1_i32_b64 s12, s[12:13]
	v_mov_b32_e32 v4, s12
	v_mov_b32_e32 v5, 0
	ds_add_u64 v0, v[4:5]
	s_trap 2
.LBB8_326:
	s_or_b64 exec, exec, s[10:11]
	v_lshrrev_b32_e32 v0, 6, v1
	s_trap 2
	ds_read_b64 v[4:5], v0
	s_waitcnt lgkmcnt(0)
	v_add_co_u32_e32 v0, vcc, v2, v0
	v_addc_co_u32_e32 v1, vcc, 0, v3, vcc
	v_cmp_lt_u64_e32 vcc, v[4:5], v[0:1]
	s_and_saveexec_b64 s[10:11], vcc
	s_cbranch_execz .LBB8_335
; %bb.327:
	s_mov_b32 s26, 0
	s_mov_b64 s[12:13], 0
                                        ; implicit-def: $sgpr14_sgpr15
                                        ; implicit-def: $sgpr16_sgpr17
	s_branch .LBB8_329
.LBB8_328:                              ;   in Loop: Header=BB8_329 Depth=1
	s_or_b64 exec, exec, s[22:23]
	s_and_b64 s[18:19], exec, s[24:25]
	s_or_b64 s[12:13], s[18:19], s[12:13]
	s_andn2_b64 s[14:15], s[14:15], exec
	s_and_b64 s[18:19], s[16:17], exec
	s_or_b64 s[14:15], s[14:15], s[18:19]
	s_andn2_b64 exec, exec, s[12:13]
	s_cbranch_execz .LBB8_333
.LBB8_329:                              ; =>This Inner Loop Header: Depth=1
	s_add_i32 s26, s26, 1
	s_cmpk_lg_i32 s26, 0x2710
	s_cselect_b64 s[18:19], -1, 0
	s_and_b64 vcc, exec, s[18:19]
	s_cbranch_vccz .LBB8_331
; %bb.330:                              ;   in Loop: Header=BB8_329 Depth=1
	s_mov_b64 s[24:25], -1
	s_or_b64 s[16:17], s[16:17], exec
	s_and_saveexec_b64 s[22:23], s[18:19]
	s_cbranch_execz .LBB8_328
	s_branch .LBB8_332
.LBB8_331:                              ;   in Loop: Header=BB8_329 Depth=1
	s_trap 2
	ds_read_b64 v[2:3], v0
	s_andn2_b64 s[18:19], s[18:19], exec
	s_mov_b32 s26, 0
	s_waitcnt lgkmcnt(0)
	flat_load_dword v2, v[2:3] glc
	s_waitcnt vmcnt(0) lgkmcnt(0)
	buffer_wbinvl1_vol
	v_cmp_eq_u32_e32 vcc, 0, v2
	s_and_b64 s[22:23], vcc, exec
	s_or_b64 s[18:19], s[18:19], s[22:23]
	s_mov_b64 s[24:25], -1
	s_or_b64 s[16:17], s[16:17], exec
	s_and_saveexec_b64 s[22:23], s[18:19]
	s_cbranch_execz .LBB8_328
.LBB8_332:                              ;   in Loop: Header=BB8_329 Depth=1
	s_sleep 1
	s_trap 2
	ds_read_b64 v[2:3], v0
	s_waitcnt lgkmcnt(0)
	s_andn2_b64 s[16:17], s[16:17], exec
	v_cmp_ge_u64_e32 vcc, v[2:3], v[0:1]
	s_orn2_b64 s[24:25], vcc, exec
	s_branch .LBB8_328
.LBB8_333:
	s_or_b64 exec, exec, s[12:13]
	s_and_saveexec_b64 s[12:13], s[14:15]
	s_xor_b64 s[12:13], exec, s[12:13]
	s_cbranch_execz .LBB8_335
; %bb.334:
	v_mov_b32_e32 v0, 1
	ds_write_b32 v0, v0
	s_trap 2
.LBB8_335:
	s_or_b64 exec, exec, s[10:11]
	;;#ASMSTART
	s_wakeup
	;;#ASMEND
.LBB8_336:
	s_or_b64 exec, exec, s[8:9]
.LBB8_337:
	s_andn2_saveexec_b64 s[6:7], s[6:7]
	s_cbranch_execz .LBB8_339
; %bb.338:
	s_waitcnt lgkmcnt(0)
	buffer_wbinvl1_vol
	s_barrier
.LBB8_339:
	s_or_b64 exec, exec, s[4:5]
.LBB8_340:
	s_or_b64 exec, exec, s[20:21]
	buffer_load_dword v63, off, s[0:3], s32 ; 4-byte Folded Reload
	buffer_load_dword v62, off, s[0:3], s32 offset:4 ; 4-byte Folded Reload
	buffer_load_dword v61, off, s[0:3], s32 offset:8 ; 4-byte Folded Reload
	;; [unrolled: 1-line block ×7, first 2 shown]
	s_waitcnt lgkmcnt(0)
	buffer_load_dword v47, off, s[0:3], s32 offset:32 ; 4-byte Folded Reload
	buffer_load_dword v46, off, s[0:3], s32 offset:36 ; 4-byte Folded Reload
	;; [unrolled: 1-line block ×8, first 2 shown]
	s_waitcnt vmcnt(0)
	s_setpc_b64 s[30:31]
.Lfunc_end8:
	.size	_ZN12_GLOBAL__N_17runRingIa7FuncSumIaE7ProtoLLLi0ELi2ELi0ELb0EEEviiP15ncclDevWorkColl, .Lfunc_end8-_ZN12_GLOBAL__N_17runRingIa7FuncSumIaE7ProtoLLLi0ELi2ELi0ELb0EEEviiP15ncclDevWorkColl
                                        ; -- End function
	.set .L_ZN12_GLOBAL__N_17runRingIa7FuncSumIaE7ProtoLLLi0ELi2ELi0ELb0EEEviiP15ncclDevWorkColl.num_vgpr, 64
	.set .L_ZN12_GLOBAL__N_17runRingIa7FuncSumIaE7ProtoLLLi0ELi2ELi0ELb0EEEviiP15ncclDevWorkColl.num_agpr, 0
	.set .L_ZN12_GLOBAL__N_17runRingIa7FuncSumIaE7ProtoLLLi0ELi2ELi0ELb0EEEviiP15ncclDevWorkColl.numbered_sgpr, 94
	.set .L_ZN12_GLOBAL__N_17runRingIa7FuncSumIaE7ProtoLLLi0ELi2ELi0ELb0EEEviiP15ncclDevWorkColl.num_named_barrier, 0
	.set .L_ZN12_GLOBAL__N_17runRingIa7FuncSumIaE7ProtoLLLi0ELi2ELi0ELb0EEEviiP15ncclDevWorkColl.private_seg_size, 188
	.set .L_ZN12_GLOBAL__N_17runRingIa7FuncSumIaE7ProtoLLLi0ELi2ELi0ELb0EEEviiP15ncclDevWorkColl.uses_vcc, 1
	.set .L_ZN12_GLOBAL__N_17runRingIa7FuncSumIaE7ProtoLLLi0ELi2ELi0ELb0EEEviiP15ncclDevWorkColl.uses_flat_scratch, 0
	.set .L_ZN12_GLOBAL__N_17runRingIa7FuncSumIaE7ProtoLLLi0ELi2ELi0ELb0EEEviiP15ncclDevWorkColl.has_dyn_sized_stack, 0
	.set .L_ZN12_GLOBAL__N_17runRingIa7FuncSumIaE7ProtoLLLi0ELi2ELi0ELb0EEEviiP15ncclDevWorkColl.has_recursion, 0
	.set .L_ZN12_GLOBAL__N_17runRingIa7FuncSumIaE7ProtoLLLi0ELi2ELi0ELb0EEEviiP15ncclDevWorkColl.has_indirect_call, 0
	.section	.AMDGPU.csdata,"",@progbits
; Function info:
; codeLenInByte = 10992
; TotalNumSgprs: 98
; NumVgprs: 64
; ScratchSize: 188
; MemoryBound: 0
	.text
	.p2align	2                               ; -- Begin function _Z42ncclDevFunc_AllGather_RING_LL_Sum_i8_0_0_2v
	.type	_Z42ncclDevFunc_AllGather_RING_LL_Sum_i8_0_0_2v,@function
_Z42ncclDevFunc_AllGather_RING_LL_Sum_i8_0_0_2v: ; @_Z42ncclDevFunc_AllGather_RING_LL_Sum_i8_0_0_2v
; %bb.0:
	s_waitcnt vmcnt(0) expcnt(0) lgkmcnt(0)
	s_mov_b32 s4, s33
	s_mov_b32 s33, s32
	s_or_saveexec_b64 s[6:7], -1
	buffer_store_dword v43, off, s[0:3], s33 offset:12 ; 4-byte Folded Spill
	s_mov_b64 exec, s[6:7]
	v_writelane_b32 v43, s4, 6
	s_addk_i32 s32, 0x800
	buffer_store_dword v40, off, s[0:3], s33 offset:8 ; 4-byte Folded Spill
	buffer_store_dword v41, off, s[0:3], s33 offset:4 ; 4-byte Folded Spill
	buffer_store_dword v42, off, s[0:3], s33 ; 4-byte Folded Spill
	v_writelane_b32 v43, s34, 0
	v_writelane_b32 v43, s35, 1
	;; [unrolled: 1-line block ×6, first 2 shown]
	s_trap 2
	ds_read_b32 v0, v0
	v_mov_b32_e32 v40, v31
	s_mov_b32 s34, s12
	s_waitcnt lgkmcnt(0)
	v_cmp_gt_i32_e32 vcc, 1, v0
	s_cbranch_vccnz .LBB9_8
; %bb.1:
	s_mov_b64 s[94:95], s[8:9]
	s_mov_b32 s35, 0
	v_and_b32_e32 v41, 0x3ff, v40
	v_mov_b32_e32 v42, 6
	s_branch .LBB9_3
.LBB9_2:                                ;   in Loop: Header=BB9_3 Depth=1
	s_or_b64 exec, exec, s[36:37]
	s_trap 2
	ds_read_b32 v0, v0
	s_add_i32 s35, s35, 1
	s_waitcnt lgkmcnt(0)
	v_cmp_lt_i32_e32 vcc, s35, v0
	s_cbranch_vccz .LBB9_8
.LBB9_3:                                ; =>This Inner Loop Header: Depth=1
	s_trap 2
	ds_read_b32 v0, v0
	s_cmp_eq_u32 s35, 0
	s_cbranch_scc1 .LBB9_6
; %bb.4:                                ;   in Loop: Header=BB9_3 Depth=1
	s_trap 2
	s_waitcnt lgkmcnt(0)
	ds_read_b32 v1, v0
	s_waitcnt lgkmcnt(0)
	v_xor_b32_e32 v1, v1, v0
	v_and_b32_e32 v1, 0xff0000, v1
	v_cmp_eq_u32_e32 vcc, 0, v1
	s_cbranch_vccnz .LBB9_6
; %bb.5:                                ;   in Loop: Header=BB9_3 Depth=1
	s_waitcnt vmcnt(0)
	s_barrier
	ds_read_b32 v0, v0
.LBB9_6:                                ;   in Loop: Header=BB9_3 Depth=1
	s_waitcnt lgkmcnt(0)
	v_lshlrev_b32_sdwa v1, v42, v0 dst_sel:DWORD dst_unused:UNUSED_PAD src0_sel:DWORD src1_sel:BYTE_2
	v_cmp_lt_u32_e32 vcc, v41, v1
	s_and_saveexec_b64 s[36:37], vcc
	s_cbranch_execz .LBB9_2
; %bb.7:                                ;   in Loop: Header=BB9_3 Depth=1
	s_mov_b64 s[4:5], src_shared_base
	s_getpc_b64 s[6:7]
	s_add_u32 s6, s6, _ZN12_GLOBAL__N_17runRingIa7FuncSumIaE7ProtoLLLi0ELi2ELi0ELb0EEEviiP15ncclDevWorkColl@rel32@lo+4
	s_addc_u32 s7, s7, _ZN12_GLOBAL__N_17runRingIa7FuncSumIaE7ProtoLLLi0ELi2ELi0ELb0EEEviiP15ncclDevWorkColl@rel32@hi+12
	s_mov_b64 s[8:9], s[94:95]
	s_mov_b32 s12, s34
	v_mov_b32_e32 v31, v40
	v_mov_b32_e32 v0, v41
	;; [unrolled: 1-line block ×3, first 2 shown]
	s_swappc_b64 s[30:31], s[6:7]
	s_branch .LBB9_2
.LBB9_8:
	buffer_load_dword v42, off, s[0:3], s33 ; 4-byte Folded Reload
	buffer_load_dword v41, off, s[0:3], s33 offset:4 ; 4-byte Folded Reload
	buffer_load_dword v40, off, s[0:3], s33 offset:8 ; 4-byte Folded Reload
	v_readlane_b32 s30, v43, 4
	v_readlane_b32 s31, v43, 5
	v_readlane_b32 s37, v43, 3
	v_readlane_b32 s36, v43, 2
	v_readlane_b32 s35, v43, 1
	v_readlane_b32 s34, v43, 0
	s_mov_b32 s32, s33
	v_readlane_b32 s4, v43, 6
	s_or_saveexec_b64 s[6:7], -1
	buffer_load_dword v43, off, s[0:3], s33 offset:12 ; 4-byte Folded Reload
	s_mov_b64 exec, s[6:7]
	s_mov_b32 s33, s4
	s_waitcnt vmcnt(0)
	s_setpc_b64 s[30:31]
.Lfunc_end9:
	.size	_Z42ncclDevFunc_AllGather_RING_LL_Sum_i8_0_0_2v, .Lfunc_end9-_Z42ncclDevFunc_AllGather_RING_LL_Sum_i8_0_0_2v
                                        ; -- End function
	.set .L_Z42ncclDevFunc_AllGather_RING_LL_Sum_i8_0_0_2v.num_vgpr, max(44, .L_ZN12_GLOBAL__N_17runRingIa7FuncSumIaE7ProtoLLLi0ELi2ELi0ELb0EEEviiP15ncclDevWorkColl.num_vgpr)
	.set .L_Z42ncclDevFunc_AllGather_RING_LL_Sum_i8_0_0_2v.num_agpr, max(0, .L_ZN12_GLOBAL__N_17runRingIa7FuncSumIaE7ProtoLLLi0ELi2ELi0ELb0EEEviiP15ncclDevWorkColl.num_agpr)
	.set .L_Z42ncclDevFunc_AllGather_RING_LL_Sum_i8_0_0_2v.numbered_sgpr, max(96, .L_ZN12_GLOBAL__N_17runRingIa7FuncSumIaE7ProtoLLLi0ELi2ELi0ELb0EEEviiP15ncclDevWorkColl.numbered_sgpr)
	.set .L_Z42ncclDevFunc_AllGather_RING_LL_Sum_i8_0_0_2v.num_named_barrier, max(0, .L_ZN12_GLOBAL__N_17runRingIa7FuncSumIaE7ProtoLLLi0ELi2ELi0ELb0EEEviiP15ncclDevWorkColl.num_named_barrier)
	.set .L_Z42ncclDevFunc_AllGather_RING_LL_Sum_i8_0_0_2v.private_seg_size, 32+max(.L_ZN12_GLOBAL__N_17runRingIa7FuncSumIaE7ProtoLLLi0ELi2ELi0ELb0EEEviiP15ncclDevWorkColl.private_seg_size)
	.set .L_Z42ncclDevFunc_AllGather_RING_LL_Sum_i8_0_0_2v.uses_vcc, or(1, .L_ZN12_GLOBAL__N_17runRingIa7FuncSumIaE7ProtoLLLi0ELi2ELi0ELb0EEEviiP15ncclDevWorkColl.uses_vcc)
	.set .L_Z42ncclDevFunc_AllGather_RING_LL_Sum_i8_0_0_2v.uses_flat_scratch, or(0, .L_ZN12_GLOBAL__N_17runRingIa7FuncSumIaE7ProtoLLLi0ELi2ELi0ELb0EEEviiP15ncclDevWorkColl.uses_flat_scratch)
	.set .L_Z42ncclDevFunc_AllGather_RING_LL_Sum_i8_0_0_2v.has_dyn_sized_stack, or(0, .L_ZN12_GLOBAL__N_17runRingIa7FuncSumIaE7ProtoLLLi0ELi2ELi0ELb0EEEviiP15ncclDevWorkColl.has_dyn_sized_stack)
	.set .L_Z42ncclDevFunc_AllGather_RING_LL_Sum_i8_0_0_2v.has_recursion, or(1, .L_ZN12_GLOBAL__N_17runRingIa7FuncSumIaE7ProtoLLLi0ELi2ELi0ELb0EEEviiP15ncclDevWorkColl.has_recursion)
	.set .L_Z42ncclDevFunc_AllGather_RING_LL_Sum_i8_0_0_2v.has_indirect_call, or(0, .L_ZN12_GLOBAL__N_17runRingIa7FuncSumIaE7ProtoLLLi0ELi2ELi0ELb0EEEviiP15ncclDevWorkColl.has_indirect_call)
	.section	.AMDGPU.csdata,"",@progbits
; Function info:
; codeLenInByte = 464
; TotalNumSgprs: 100
; NumVgprs: 64
; ScratchSize: 220
; MemoryBound: 0
	.text
	.p2align	2                               ; -- Begin function _ZN12_GLOBAL__N_17runRingIa7FuncSumIaE11ProtoSimpleILi2ELi2ELi0ELi2ELi0ELi0EELi0ELi2ELi0ELb0EEEviiP15ncclDevWorkColl
	.type	_ZN12_GLOBAL__N_17runRingIa7FuncSumIaE11ProtoSimpleILi2ELi2ELi0ELi2ELi0ELi0EELi0ELi2ELi0ELb0EEEviiP15ncclDevWorkColl,@function
_ZN12_GLOBAL__N_17runRingIa7FuncSumIaE11ProtoSimpleILi2ELi2ELi0ELi2ELi0ELi0EELi0ELi2ELi0ELb0EEEviiP15ncclDevWorkColl: ; @_ZN12_GLOBAL__N_17runRingIa7FuncSumIaE11ProtoSimpleILi2ELi2ELi0ELi2ELi0ELi0EELi0ELi2ELi0ELb0EEEviiP15ncclDevWorkColl
; %bb.0:
	s_waitcnt vmcnt(0) expcnt(0) lgkmcnt(0)
	s_mov_b32 s4, s33
	s_mov_b32 s33, s32
	s_or_saveexec_b64 s[6:7], -1
	buffer_store_dword v63, off, s[0:3], s33 offset:244 ; 4-byte Folded Spill
	s_mov_b64 exec, s[6:7]
	v_writelane_b32 v63, s4, 19
	s_addk_i32 s32, 0x4000
	buffer_store_dword v40, off, s[0:3], s33 offset:56 ; 4-byte Folded Spill
	buffer_store_dword v41, off, s[0:3], s33 offset:52 ; 4-byte Folded Spill
	;; [unrolled: 1-line block ×14, first 2 shown]
	buffer_store_dword v62, off, s[0:3], s33 ; 4-byte Folded Spill
	v_writelane_b32 v63, s34, 0
	v_writelane_b32 v63, s35, 1
	;; [unrolled: 1-line block ×19, first 2 shown]
	s_trap 2
	flat_load_dword v5, v[2:3]
	flat_load_dwordx4 v[16:19], v[2:3] offset:72
	flat_load_dwordx2 v[12:13], v[2:3] offset:88
	v_mov_b32_e32 v10, v1
	v_mov_b32_e32 v59, v0
	ds_read_b32 v1, v0
                                        ; implicit-def: $vgpr34_vgpr35
	s_waitcnt lgkmcnt(0)
	v_readfirstlane_b32 s52, v1
	s_waitcnt vmcnt(0)
	v_not_b32_sdwa v4, v5 dst_sel:DWORD dst_unused:UNUSED_PAD src0_sel:BYTE_0
	v_add_u32_sdwa v0, v5, v4 dst_sel:DWORD dst_unused:UNUSED_PAD src0_sel:BYTE_1 src1_sel:DWORD
	v_ashrrev_i32_e32 v6, 31, v0
	v_mul_lo_u32 v7, v19, v0
	v_mad_u64_u32 v[14:15], s[4:5], v18, v0, 0
	v_mul_lo_u32 v0, v18, v6
	v_cmp_ne_u32_sdwa s[4:5], v1, v5 src0_sel:DWORD src1_sel:BYTE_0
	ds_read_b64 v[8:9], v0
	v_add3_u32 v0, v15, v0, v7
	s_waitcnt lgkmcnt(0)
	buffer_store_dword v8, off, s[0:3], s33 offset:140 ; 4-byte Folded Spill
	s_nop 0
	buffer_store_dword v9, off, s[0:3], s33 offset:144 ; 4-byte Folded Spill
                                        ; implicit-def: $vgpr6_vgpr7
                                        ; kill: killed $vgpr6_vgpr7
	s_and_saveexec_b64 s[6:7], s[4:5]
	s_xor_b64 s[4:5], exec, s[6:7]
	s_cbranch_execz .LBB10_6
; %bb.1:
	v_cmp_ne_u32_sdwa s[6:7], v1, v5 src0_sel:DWORD src1_sel:BYTE_1
                                        ; implicit-def: $vgpr34_vgpr35
                                        ; implicit-def: $vgpr5_vgpr6
                                        ; kill: killed $vgpr5_vgpr6
	s_and_saveexec_b64 s[10:11], s[6:7]
	s_xor_b64 s[6:7], exec, s[10:11]
	s_cbranch_execz .LBB10_3
; %bb.2:
	flat_load_dwordx2 v[5:6], v[2:3] offset:96
	v_add_u32_e32 v1, v1, v4
	v_ashrrev_i32_e32 v4, 31, v1
	v_mul_lo_u32 v4, v18, v4
	v_mul_lo_u32 v7, v19, v1
	v_mad_u64_u32 v[8:9], s[10:11], v18, v1, v[16:17]
	v_add3_u32 v9, v7, v9, v4
	buffer_store_dword v8, off, s[0:3], s33 offset:164 ; 4-byte Folded Spill
	s_nop 0
	buffer_store_dword v9, off, s[0:3], s33 offset:168 ; 4-byte Folded Spill
	s_waitcnt vmcnt(0) lgkmcnt(0)
	v_lshrrev_b64 v[34:35], 21, v[5:6]
.LBB10_3:
	s_andn2_saveexec_b64 s[6:7], s[6:7]
	s_cbranch_execz .LBB10_5
; %bb.4:
	flat_load_dword v1, v[2:3] offset:100
	v_add_co_u32_e32 v4, vcc, v14, v16
	v_mov_b32_e32 v19, v13
	v_addc_co_u32_e32 v5, vcc, v0, v17, vcc
	v_mov_b32_e32 v18, v12
	buffer_store_dword v4, off, s[0:3], s33 offset:164 ; 4-byte Folded Spill
	s_nop 0
	buffer_store_dword v5, off, s[0:3], s33 offset:168 ; 4-byte Folded Spill
	s_waitcnt vmcnt(0) lgkmcnt(0)
	v_lshrrev_b32_e32 v34, 10, v1
.LBB10_5:
	s_or_b64 exec, exec, s[6:7]
.LBB10_6:
	s_andn2_saveexec_b64 s[4:5], s[4:5]
	s_cbranch_execz .LBB10_8
; %bb.7:
	flat_load_dwordx2 v[34:35], v[2:3] offset:96
	v_mov_b32_e32 v4, 0
	v_mov_b32_e32 v19, v17
	;; [unrolled: 1-line block ×4, first 2 shown]
	buffer_store_dword v4, off, s[0:3], s33 offset:164 ; 4-byte Folded Spill
	s_nop 0
	buffer_store_dword v5, off, s[0:3], s33 offset:168 ; 4-byte Folded Spill
.LBB10_8:
	s_or_b64 exec, exec, s[4:5]
	flat_load_dwordx4 v[50:53], v[2:3] offset:16
	v_add_co_u32_e32 v1, vcc, v12, v16
	v_addc_co_u32_e32 v4, vcc, v13, v17, vcc
	v_add_co_u32_e32 v1, vcc, v1, v14
	v_addc_co_u32_e32 v0, vcc, v4, v0, vcc
	v_cmp_ge_i32_e32 vcc, v59, v10
	buffer_store_dword v1, off, s[0:3], s33 offset:148 ; 4-byte Folded Spill
	buffer_store_dword v0, off, s[0:3], s33 offset:152 ; 4-byte Folded Spill
	s_and_saveexec_b64 s[4:5], vcc
	s_xor_b64 s[6:7], exec, s[4:5]
	s_cbranch_execz .LBB10_33
; %bb.9:
	buffer_load_dword v0, off, s[0:3], s33 offset:140 ; 4-byte Folded Reload
	buffer_load_dword v1, off, s[0:3], s33 offset:144 ; 4-byte Folded Reload
	;; [unrolled: 1-line block ×4, first 2 shown]
	s_waitcnt vmcnt(0)
	flat_load_dword v0, v[0:1]
	s_waitcnt vmcnt(0) lgkmcnt(0)
	v_ashrrev_i32_e32 v1, 31, v0
	v_mul_lo_u32 v4, v2, v0
	v_mad_u64_u32 v[2:3], s[4:5], v5, v0, 0
	v_mul_lo_u32 v0, v5, v1
	v_add3_u32 v3, v3, v0, v4
	v_add_co_u32_e32 v0, vcc, v50, v2
	v_addc_co_u32_e32 v1, vcc, v51, v3, vcc
	v_cmp_ne_u64_e32 vcc, v[52:53], v[0:1]
	s_and_saveexec_b64 s[10:11], vcc
	s_cbranch_execz .LBB10_32
; %bb.10:
	buffer_load_dword v0, off, s[0:3], s33 offset:164 ; 4-byte Folded Reload
	buffer_load_dword v1, off, s[0:3], s33 offset:168 ; 4-byte Folded Reload
	v_sub_u32_e32 v6, v59, v10
	s_mov_b64 s[14:15], 0
	s_mov_b64 s[16:17], 0
	s_waitcnt vmcnt(1)
	v_add_co_u32_e32 v12, vcc, v52, v0
	s_waitcnt vmcnt(0)
	v_addc_co_u32_e32 v13, vcc, v53, v1, vcc
	v_add_co_u32_e32 v0, vcc, v50, v0
	v_addc_co_u32_e32 v1, vcc, v51, v1, vcc
	v_add_co_u32_e32 v14, vcc, v0, v2
	v_ashrrev_i16_e32 v0, 15, v6
	v_lshrrev_b16_e32 v0, 10, v0
	v_addc_co_u32_e32 v15, vcc, v1, v3, vcc
	v_add_u16_e32 v1, v6, v0
	v_and_b32_e32 v0, 0xffffffc0, v1
	v_sub_u16_e32 v0, v6, v0
	v_cmp_gt_i16_e32 vcc, 1, v0
	s_and_saveexec_b64 s[4:5], vcc
; %bb.11:
	v_or_b32_e32 v2, v12, v14
	v_and_b32_e32 v2, 15, v2
	v_cmp_ne_u32_e32 vcc, 0, v2
	s_and_b64 s[16:17], vcc, exec
; %bb.12:
	s_or_b64 exec, exec, s[4:5]
	v_ashrrev_i16_e32 v16, 6, v1
	v_cndmask_b32_e64 v1, 0, 1, s[16:17]
	v_cmp_ne_u32_e32 vcc, 0, v1
	s_cbranch_vccz .LBB10_14
; %bb.13:
	v_mov_b32_e32 v4, 0
	s_mov_b64 s[18:19], -1
	v_mov_b32_e32 v5, 0
	s_mov_b64 s[4:5], 0
                                        ; implicit-def: $vgpr2_vgpr3
                                        ; implicit-def: $vgpr0_vgpr1
                                        ; implicit-def: $vgpr17
	s_and_saveexec_b64 s[16:17], s[18:19]
	s_cbranch_execnz .LBB10_23
	s_branch .LBB10_26
.LBB10_14:
	v_bfe_i32 v17, v0, 0, 16
	v_ashrrev_i32_e32 v0, 31, v19
	v_lshrrev_b32_e32 v0, 20, v0
	v_add_co_u32_e32 v0, vcc, v18, v0
	v_addc_co_u32_e32 v1, vcc, 0, v19, vcc
	v_ashrrev_i64 v[8:9], 12, v[0:1]
	v_bfe_i32 v0, v16, 0, 16
	v_ashrrev_i32_e32 v1, 31, v0
	v_sub_co_u32_e32 v10, vcc, v8, v0
	v_subb_co_u32_e32 v11, vcc, v9, v1, vcc
	v_cmp_gt_i64_e32 vcc, 1, v[10:11]
	v_mov_b32_e32 v4, 0
	s_mov_b64 s[18:19], 0
	s_mov_b64 s[4:5], -1
	v_mov_b32_e32 v5, 0
                                        ; implicit-def: $vgpr2_vgpr3
                                        ; implicit-def: $vgpr0_vgpr1
                                        ; implicit-def: $vgpr6
	s_and_saveexec_b64 s[16:17], vcc
	s_cbranch_execz .LBB10_22
; %bb.15:
	v_lshlrev_b64 v[0:1], 12, v[8:9]
	v_mov_b32_e32 v4, 0
	v_cmp_ne_u64_e32 vcc, v[18:19], v[0:1]
	v_mov_b32_e32 v5, 0
	s_mov_b64 s[20:21], 0
                                        ; implicit-def: $vgpr2_vgpr3
                                        ; implicit-def: $vgpr8_vgpr9
                                        ; implicit-def: $vgpr6
	s_and_saveexec_b64 s[14:15], vcc
	s_cbranch_execz .LBB10_21
; %bb.16:
	v_sub_co_u32_e32 v6, vcc, v18, v0
	v_subb_co_u32_e32 v11, vcc, v19, v1, vcc
	v_ashrrev_i32_e32 v2, 31, v11
	v_lshrrev_b32_e32 v2, 22, v2
	v_add_co_u32_e32 v4, vcc, v6, v2
	v_addc_co_u32_e32 v5, vcc, 0, v11, vcc
	v_ashrrev_i64 v[7:8], 10, v[4:5]
	v_and_b32_e32 v2, 0xfffffc00, v4
	v_sub_co_u32_e32 v8, vcc, v6, v2
	v_subb_co_u32_e32 v9, vcc, v11, v5, vcc
	v_cmp_lt_i64_e32 vcc, 15, v[8:9]
	v_add_co_u32_e64 v4, s[4:5], v2, v0
	v_mov_b32_e32 v3, 0
	v_addc_co_u32_e64 v5, s[4:5], v5, v1, s[4:5]
	s_and_saveexec_b64 s[4:5], vcc
; %bb.17:
	v_add_co_u32_e32 v7, vcc, 1, v7
	v_and_b32_e32 v2, 15, v18
	v_sub_co_u32_e32 v8, vcc, v8, v2
	v_subbrev_co_u32_e32 v9, vcc, 0, v9, vcc
	v_add_co_u32_e32 v4, vcc, v8, v4
	v_addc_co_u32_e32 v5, vcc, v9, v5, vcc
	v_mov_b32_e32 v9, v3
	v_mov_b32_e32 v8, v2
; %bb.18:
	s_or_b64 exec, exec, s[4:5]
	v_lshlrev_b32_e32 v2, 6, v10
	v_sub_u32_e32 v2, v17, v2
	v_ashrrev_i32_e32 v3, 31, v2
	v_lshrrev_b32_e32 v3, 26, v3
	v_add_u32_e32 v3, v2, v3
	v_ashrrev_i32_e32 v10, 6, v3
	v_and_b32_e32 v3, 0xffffffc0, v3
	v_sub_u32_e32 v18, v2, v3
	v_lshlrev_b32_e32 v2, 4, v18
	v_lshl_add_u32 v2, v10, 10, v2
	v_ashrrev_i32_e32 v3, 31, v2
	v_sub_co_u32_e32 v19, vcc, v6, v2
	v_subb_co_u32_e32 v20, vcc, v11, v3, vcc
	v_cmp_gt_i64_e32 vcc, 16, v[19:20]
	s_mov_b64 s[4:5], 0
	s_mov_b64 s[18:19], -1
                                        ; implicit-def: $vgpr6
	s_and_saveexec_b64 s[20:21], vcc
; %bb.19:
	v_cmp_ne_u64_e32 vcc, 0, v[8:9]
	v_sub_u32_e32 v6, v10, v7
	v_lshl_add_u32 v6, v6, 6, v18
	s_xor_b64 s[18:19], exec, -1
	s_and_b64 s[4:5], vcc, exec
; %bb.20:
	s_or_b64 exec, exec, s[20:21]
	s_and_b64 s[20:21], s[18:19], exec
	s_and_b64 s[18:19], s[4:5], exec
.LBB10_21:
	s_or_b64 exec, exec, s[14:15]
	v_mov_b32_e32 v19, v9
	s_xor_b64 s[4:5], exec, -1
	s_and_b64 s[14:15], s[20:21], exec
	s_and_b64 s[18:19], s[18:19], exec
	v_mov_b32_e32 v18, v8
.LBB10_22:
	s_or_b64 exec, exec, s[16:17]
	s_and_saveexec_b64 s[16:17], s[18:19]
	s_cbranch_execz .LBB10_26
.LBB10_23:
	v_ashrrev_i32_e32 v7, 31, v6
	v_lshrrev_b32_e32 v7, 26, v7
	v_add_u32_e32 v7, v6, v7
	v_ashrrev_i32_e32 v8, 6, v7
	v_ashrrev_i32_e32 v7, 31, v19
	v_lshrrev_b32_e32 v7, 22, v7
	v_add_co_u32_e32 v9, vcc, v18, v7
	v_addc_co_u32_e32 v10, vcc, 0, v19, vcc
	v_ashrrev_i64 v[10:11], 10, v[9:10]
	v_ashrrev_i32_e32 v9, 31, v8
	v_cmp_gt_i64_e32 vcc, v[10:11], v[8:9]
	s_and_b64 exec, exec, vcc
	s_cbranch_execz .LBB10_26
; %bb.24:
	v_lshlrev_b32_e32 v7, 6, v8
	v_sub_u32_e32 v6, v6, v7
	v_lshl_add_u32 v6, v8, 10, v6
	v_ashrrev_i32_e32 v7, 31, v6
	v_add_co_u32_e32 v6, vcc, v4, v6
	v_addc_co_u32_e32 v7, vcc, v5, v7, vcc
	v_add_co_u32_e32 v4, vcc, v6, v14
	v_addc_co_u32_e32 v5, vcc, v7, v15, vcc
	;; [unrolled: 2-line block ×3, first 2 shown]
	s_and_b64 vcc, exec, -1
.LBB10_25:                              ; =>This Inner Loop Header: Depth=1
	flat_load_ubyte v8, v[6:7] glc slc
	flat_load_ubyte v9, v[6:7] offset:64 glc slc
	flat_load_ubyte v10, v[6:7] offset:128 glc slc
	;; [unrolled: 1-line block ×15, first 2 shown]
	s_waitcnt vmcnt(0) lgkmcnt(0)
	flat_store_byte v[4:5], v8 glc slc
	flat_store_byte v[4:5], v9 offset:64 glc slc
	flat_store_byte v[4:5], v10 offset:128 glc slc
	;; [unrolled: 1-line block ×15, first 2 shown]
	s_mov_b64 vcc, vcc
	s_cbranch_vccnz .LBB10_25
.LBB10_26:
	s_or_b64 exec, exec, s[16:17]
	s_and_saveexec_b64 s[16:17], s[14:15]
	s_cbranch_execz .LBB10_29
; %bb.27:
	v_add_co_u32_e32 v2, vcc, v0, v2
	v_addc_co_u32_e32 v3, vcc, v1, v3, vcc
	v_add_co_u32_e32 v0, vcc, v2, v14
	v_addc_co_u32_e32 v1, vcc, v3, v15, vcc
	;; [unrolled: 2-line block ×3, first 2 shown]
	s_and_b64 vcc, exec, 0
.LBB10_28:                              ; =>This Inner Loop Header: Depth=1
	global_load_dwordx4 v[4:7], v[2:3], off glc slc
	s_waitcnt vmcnt(0)
	global_store_dwordx4 v[0:1], v[4:7], off glc slc
	s_mov_b64 vcc, vcc
	s_cbranch_vccz .LBB10_28
.LBB10_29:
	s_or_b64 exec, exec, s[16:17]
	s_and_saveexec_b64 s[14:15], s[4:5]
	s_xor_b64 s[14:15], exec, s[14:15]
	s_cbranch_execz .LBB10_32
; %bb.30:
	v_bfe_i32 v0, v16, 0, 16
	v_lshlrev_b32_e32 v1, 4, v17
	v_lshl_add_u32 v2, v0, 12, v1
	v_ashrrev_i32_e32 v3, 31, v2
	v_add_co_u32_e32 v0, vcc, v14, v2
	v_addc_co_u32_e32 v1, vcc, v15, v3, vcc
	v_add_co_u32_e32 v2, vcc, v12, v2
	v_addc_co_u32_e32 v3, vcc, v13, v3, vcc
	s_and_b64 vcc, exec, 0
.LBB10_31:                              ; =>This Inner Loop Header: Depth=1
	global_load_dwordx4 v[4:7], v[2:3], off glc slc
	global_load_dwordx4 v[8:11], v[2:3], off offset:1024 glc slc
	global_load_dwordx4 v[12:15], v[2:3], off offset:2048 glc slc
	;; [unrolled: 1-line block ×3, first 2 shown]
	s_waitcnt vmcnt(0)
	global_store_dwordx4 v[0:1], v[4:7], off glc slc
	global_store_dwordx4 v[0:1], v[8:11], off offset:1024 glc slc
	global_store_dwordx4 v[0:1], v[12:15], off offset:2048 glc slc
	;; [unrolled: 1-line block ×3, first 2 shown]
	s_mov_b64 vcc, vcc
	s_cbranch_vccz .LBB10_31
.LBB10_32:
	s_or_b64 exec, exec, s[10:11]
                                        ; implicit-def: $vgpr0_vgpr1
                                        ; kill: killed $vgpr0_vgpr1
                                        ; implicit-def: $vgpr18_vgpr19
                                        ; implicit-def: $vgpr34_vgpr35
                                        ; implicit-def: $vgpr59
                                        ; implicit-def: $vgpr10
                                        ; implicit-def: $vgpr50_vgpr51_vgpr52_vgpr53
                                        ; implicit-def: $vgpr31
                                        ; implicit-def: $vgpr2_vgpr3
                                        ; implicit-def: $vgpr0_vgpr1
                                        ; kill: killed $vgpr0_vgpr1
                                        ; implicit-def: $vgpr0
                                        ; kill: killed $vgpr0
                                        ; implicit-def: $vgpr0
                                        ; kill: killed $vgpr0
.LBB10_33:
	s_andn2_saveexec_b64 s[44:45], s[6:7]
	s_cbranch_execz .LBB10_1048
; %bb.34:
	s_trap 2
	ds_read_b64 v[0:1], v0
	s_waitcnt lgkmcnt(0)
	v_cmp_ne_u32_e32 vcc, -1, v0
	v_cndmask_b32_e64 v16, 0, 1, vcc
	v_cmp_ne_u32_e32 vcc, -1, v1
	v_addc_co_u32_e64 v0, s[4:5], 0, v16, vcc
	v_lshlrev_b32_e32 v1, 1, v0
	v_cmp_le_u32_e64 s[4:5], v1, v10
	s_and_saveexec_b64 s[6:7], s[4:5]
	s_xor_b64 s[46:47], exec, s[6:7]
	s_cbranch_execz .LBB10_1045
; %bb.35:
	flat_load_dwordx2 v[4:5], v[2:3] offset:104
	flat_load_ushort v13, v[2:3] offset:8
	flat_load_dword v12, v[2:3] offset:4
	s_trap 2
	s_load_dword s4, s[8:9], 0x0
	v_mov_b32_e32 v1, 0
	v_mov_b32_e32 v56, 4
	s_waitcnt lgkmcnt(0)
	s_cmp_lt_u32 s12, s4
	s_cselect_b32 s4, 12, 18
	s_add_u32 s4, s8, s4
	s_addc_u32 s5, s9, 0
	global_load_ushort v11, v1, s[4:5]
	ds_read_b32 v1, v0
	v_cmp_ge_i32_e64 s[4:5], v59, v16
	s_waitcnt lgkmcnt(0)
	v_readfirstlane_b32 s12, v1
	s_and_saveexec_b64 s[6:7], s[4:5]
	s_cbranch_execz .LBB10_45
; %bb.36:
	v_cmp_ge_u32_e64 s[4:5], v59, v0
                                        ; implicit-def: $vgpr56
	s_and_saveexec_b64 s[10:11], s[4:5]
	s_xor_b64 s[4:5], exec, s[10:11]
	s_cbranch_execz .LBB10_42
; %bb.37:
	v_cndmask_b32_e64 v1, 0, 1, vcc
	v_sub_u32_e32 v1, v10, v1
	v_cmp_ge_u32_e32 vcc, v59, v1
	s_and_saveexec_b64 s[10:11], vcc
	s_xor_b64 s[10:11], exec, s[10:11]
; %bb.38:
                                        ; implicit-def: $vgpr0
; %bb.39:
	s_or_saveexec_b64 s[10:11], s[10:11]
	v_mov_b32_e32 v56, 16
	s_xor_b64 exec, exec, s[10:11]
; %bb.40:
	v_sub_u32_e32 v0, v10, v0
	v_cmp_lt_i32_e32 vcc, v59, v0
	v_cndmask_b32_e64 v56, 32, 0, vcc
; %bb.41:
	s_or_b64 exec, exec, s[10:11]
.LBB10_42:
	s_andn2_saveexec_b64 s[4:5], s[4:5]
; %bb.43:
	v_mov_b32_e32 v56, 8
; %bb.44:
	s_or_b64 exec, exec, s[4:5]
.LBB10_45:
	s_or_b64 exec, exec, s[6:7]
	v_and_b32_e32 v0, 36, v56
	v_cmp_ne_u32_e32 vcc, 0, v0
	v_mov_b32_e32 v14, -1
	s_and_saveexec_b64 s[4:5], vcc
	s_cbranch_execz .LBB10_47
; %bb.46:
	s_trap 2
	ds_read_b32 v14, v0
.LBB10_47:
	s_or_b64 exec, exec, s[4:5]
	v_and_b32_e32 v0, 24, v56
	v_cmp_ne_u32_e64 s[4:5], 0, v0
	s_and_saveexec_b64 s[6:7], s[4:5]
	s_cbranch_execz .LBB10_49
; %bb.48:
	s_trap 2
	s_waitcnt lgkmcnt(0)
	ds_read_b32 v14, v0
.LBB10_49:
	s_or_b64 exec, exec, s[6:7]
	s_waitcnt vmcnt(0)
	v_lshrrev_b64 v[0:1], 31, v[12:13]
	v_mov_b32_e32 v20, 0
	v_mov_b32_e32 v26, 0
	;; [unrolled: 1-line block ×4, first 2 shown]
	v_and_b32_e32 v0, 3, v0
                                        ; implicit-def: $vgpr6_vgpr7
                                        ; kill: killed $vgpr6_vgpr7
                                        ; implicit-def: $vgpr61
                                        ; implicit-def: $vgpr48_vgpr49
                                        ; implicit-def: $vgpr12_vgpr13
                                        ; implicit-def: $vgpr32_vgpr33
                                        ; implicit-def: $vgpr24_vgpr25
	s_and_saveexec_b64 s[4:5], vcc
	s_cbranch_execz .LBB10_59
; %bb.50:
	s_trap 2
	ds_read_b64 v[6:7], v0
	s_waitcnt lgkmcnt(1)
	v_ashrrev_i32_e32 v15, 31, v14
	v_lshlrev_b64 v[8:9], 3, v[14:15]
	v_and_b32_e32 v1, 0xffff, v0
	s_movk_i32 s6, 0xa8
	s_waitcnt lgkmcnt(0)
	v_add_co_u32_e32 v6, vcc, v6, v8
	v_addc_co_u32_e32 v7, vcc, v7, v9, vcc
	flat_load_dwordx2 v[6:7], v[6:7]
	s_waitcnt vmcnt(0) lgkmcnt(0)
	v_mad_u64_u32 v[28:29], s[6:7], v1, s6, v[6:7]
                                        ; implicit-def: $vgpr6_vgpr7
                                        ; kill: killed $vgpr6_vgpr7
	flat_load_dword v1, v[28:29] offset:640
	s_waitcnt vmcnt(0) lgkmcnt(0)
	v_cmp_eq_u32_e32 vcc, 1, v1
	s_and_saveexec_b64 s[6:7], vcc
	s_cbranch_execz .LBB10_52
; %bb.51:
	flat_load_dwordx2 v[8:9], v[28:29] offset:648
	v_or_b32_e32 v56, 0x2000, v56
	s_waitcnt vmcnt(0) lgkmcnt(0)
	flat_load_dwordx2 v[6:7], v[8:9]
	s_trap 2
	s_waitcnt vmcnt(0) lgkmcnt(0)
	ds_write_b64 v0, v[6:7]
	flat_load_dwordx2 v[6:7], v[8:9] offset:8
	s_waitcnt vmcnt(0) lgkmcnt(0)
	ds_write_b64 v0, v[6:7]
	buffer_store_dword v8, off, s[0:3], s33 offset:236 ; 4-byte Folded Spill
	s_nop 0
	buffer_store_dword v9, off, s[0:3], s33 offset:240 ; 4-byte Folded Spill
	flat_load_dwordx2 v[6:7], v[8:9] offset:16
	s_waitcnt vmcnt(0) lgkmcnt(0)
	ds_write_b64 v0, v[6:7]
.LBB10_52:
	s_or_b64 exec, exec, s[6:7]
	flat_load_dwordx2 v[6:7], v[28:29] offset:608
	v_and_b32_e32 v1, 32, v56
                                        ; implicit-def: $vgpr24_vgpr25
	s_waitcnt vmcnt(0) lgkmcnt(0)
	v_add_co_u32_e32 v6, vcc, 3, v6
	v_addc_co_u32_e32 v49, vcc, 0, v7, vcc
	v_and_b32_e32 v48, -4, v6
	v_cmp_ne_u32_e32 vcc, 0, v1
	s_and_saveexec_b64 s[6:7], vcc
	s_cbranch_execz .LBB10_54
; %bb.53:
	flat_load_dwordx2 v[24:25], v[28:29] offset:560
	s_waitcnt vmcnt(0) lgkmcnt(0)
	flat_store_dwordx2 v[24:25], v[48:49]
.LBB10_54:
	s_or_b64 exec, exec, s[6:7]
	v_add_co_u32_e32 v20, vcc, 0x1f8, v28
	v_addc_co_u32_e32 v21, vcc, 0, v29, vcc
	v_and_b32_e32 v1, 4, v56
	v_mov_b32_e32 v26, 0
	v_mov_b32_e32 v27, 0
	v_cmp_ne_u32_e32 vcc, 0, v1
                                        ; implicit-def: $vgpr61
                                        ; implicit-def: $vgpr12_vgpr13
                                        ; implicit-def: $vgpr32_vgpr33
	s_and_saveexec_b64 s[6:7], vcc
	s_cbranch_execz .LBB10_58
; %bb.55:
	v_and_b32_e32 v1, 0x800, v56
	v_cmp_eq_u32_e32 vcc, 0, v1
	s_and_saveexec_b64 s[10:11], vcc
	s_cbranch_execz .LBB10_57
; %bb.56:
	s_trap 2
	ds_write_b64 v0, v[20:21]
.LBB10_57:
	s_or_b64 exec, exec, s[10:11]
	flat_load_dwordx2 v[24:25], v[28:29] offset:552
	v_or_b32_e32 v1, 0x100, v56
	s_waitcnt vmcnt(0) lgkmcnt(0)
	flat_load_dwordx2 v[32:33], v[24:25] glc
	flat_load_dwordx2 v[6:7], v[28:29] offset:600
	flat_load_dword v61, v[28:29] offset:576
	flat_load_dwordx2 v[12:13], v[28:29] offset:520
	s_waitcnt vmcnt(0) lgkmcnt(0)
	v_cmp_eq_u64_e32 vcc, 0, v[6:7]
	v_mov_b32_e32 v27, v7
	v_mov_b32_e32 v26, v6
	v_cndmask_b32_e32 v56, v1, v56, vcc
.LBB10_58:
	s_or_b64 exec, exec, s[6:7]
.LBB10_59:
	s_or_b64 exec, exec, s[4:5]
	v_and_b32_e32 v1, 24, v56
	v_cmp_ne_u32_e32 vcc, 0, v1
                                        ; implicit-def: $vgpr6_vgpr7
                                        ; kill: killed $vgpr6_vgpr7
	s_and_saveexec_b64 s[4:5], vcc
	s_cbranch_execz .LBB10_67
; %bb.60:
	s_trap 2
	ds_read_b64 v[6:7], v0
	s_waitcnt lgkmcnt(0)
	v_ashrrev_i32_e32 v15, 31, v14
	v_lshlrev_b64 v[8:9], 3, v[14:15]
	v_and_b32_e32 v0, 0xffff, v0
	s_movk_i32 s6, 0xa8
	v_add_co_u32_e32 v6, vcc, v6, v8
	v_addc_co_u32_e32 v7, vcc, v7, v9, vcc
	flat_load_dwordx2 v[6:7], v[6:7]
	s_waitcnt vmcnt(0) lgkmcnt(0)
	v_mad_u64_u32 v[20:21], s[6:7], v0, s6, v[6:7]
	v_or_b32_e32 v0, 0x100, v56
	flat_load_dwordx4 v[26:29], v[20:21] offset:96
	s_waitcnt vmcnt(0) lgkmcnt(0)
	v_cmp_eq_u64_e32 vcc, 0, v[26:27]
	v_cndmask_b32_e32 v56, v0, v56, vcc
	v_and_b32_e32 v0, 16, v56
	v_cmp_ne_u32_e32 vcc, 0, v0
                                        ; implicit-def: $vgpr0_vgpr1
                                        ; kill: killed $vgpr0_vgpr1
	s_and_saveexec_b64 s[6:7], vcc
	s_cbranch_execz .LBB10_62
; %bb.61:
	flat_load_dwordx2 v[24:25], v[20:21] offset:48
	flat_load_dwordx2 v[0:1], v[20:21] offset:120
	s_waitcnt vmcnt(0) lgkmcnt(0)
	buffer_store_dword v0, off, s[0:3], s33 offset:92 ; 4-byte Folded Spill
	s_nop 0
	buffer_store_dword v1, off, s[0:3], s33 offset:96 ; 4-byte Folded Spill
	flat_load_dwordx2 v[12:13], v[20:21] offset:16
.LBB10_62:
	s_or_b64 exec, exec, s[6:7]
	v_add_co_u32_e32 v0, vcc, 3, v28
	v_addc_co_u32_e32 v49, vcc, 0, v29, vcc
	v_and_b32_e32 v48, -4, v0
	v_and_b32_e32 v0, 8, v56
	v_cmp_ne_u32_e32 vcc, 0, v0
	s_and_saveexec_b64 s[6:7], vcc
	s_cbranch_execz .LBB10_66
; %bb.63:
	v_and_b32_e32 v0, 0x800, v56
	v_cmp_eq_u32_e32 vcc, 0, v0
	s_and_saveexec_b64 s[10:11], vcc
	s_cbranch_execz .LBB10_65
; %bb.64:
	s_trap 2
	ds_write_b64 v0, v[20:21]
.LBB10_65:
	s_or_b64 exec, exec, s[10:11]
	flat_load_dwordx2 v[24:25], v[20:21] offset:56
	s_waitcnt vmcnt(0) lgkmcnt(0)
	flat_load_dwordx2 v[32:33], v[24:25] glc
	flat_load_dword v61, v[20:21] offset:72
	flat_load_dwordx2 v[12:13], v[20:21] offset:16
.LBB10_66:
	s_or_b64 exec, exec, s[6:7]
.LBB10_67:
	s_or_b64 exec, exec, s[4:5]
	v_cmp_eq_u32_e64 s[4:5], 0, v59
	s_and_saveexec_b64 s[6:7], s[4:5]
	s_cbranch_execz .LBB10_69
; %bb.68:
	flat_load_dwordx2 v[0:1], v[2:3] offset:32
	v_mov_b32_e32 v6, v52
	v_mov_b32_e32 v7, v53
	;; [unrolled: 1-line block ×4, first 2 shown]
	s_waitcnt vmcnt(0) lgkmcnt(0)
	ds_write2_b64 v0, v[6:7], v[8:9] offset1:1
	s_trap 2
	ds_write_b64 v0, v[0:1]
	ds_write_b64 v0, v[4:5]
.LBB10_69:
	s_or_b64 exec, exec, s[6:7]
	s_waitcnt lgkmcnt(0)
	v_mov_b32_e32 v14, 0
	v_cmp_ne_u64_e32 vcc, 0, v[18:19]
	v_mov_b32_e32 v15, 0
	s_and_saveexec_b64 s[56:57], vcc
	s_cbranch_execz .LBB10_1011
; %bb.70:
	buffer_store_dword v20, off, s[0:3], s33 offset:228 ; 4-byte Folded Spill
	s_nop 0
	buffer_store_dword v21, off, s[0:3], s33 offset:232 ; 4-byte Folded Spill
	v_lshlrev_b32_e32 v0, 9, v34
	v_and_b32_e32 v4, 0x3ffffe00, v0
	flat_load_dword v0, v[2:3] offset:4
	v_cvt_f64_u32_e32 v[1:2], 0
	buffer_store_dword v4, off, s[0:3], s33 offset:204 ; 4-byte Folded Spill
	v_cvt_f64_u32_e32 v[3:4], v4
	s_ashr_i32 s6, s12, 31
	v_ldexp_f64 v[1:2], v[1:2], 32
	s_lshr_b32 s6, s6, 25
	s_add_i32 s12, s12, s6
	v_and_b32_e32 v5, 0x3fc0, v10
	v_cmp_ne_u32_sdwa s[58:59], v10, v11 src0_sel:DWORD src1_sel:WORD_0
	v_lshrrev_b32_e32 v62, 6, v10
	v_lshlrev_b32_e32 v36, 10, v62
	v_add_u32_e32 v37, 0xfffffc00, v36
	v_add_f64 v[1:2], v[1:2], v[3:4]
	s_movk_i32 s18, 0x400
	v_ashrrev_i32_e32 v39, 31, v37
	s_ashr_i32 s53, s12, 7
	v_cmp_eq_u32_e64 s[10:11], 64, v10
	buffer_store_dword v1, off, s[0:3], s33 offset:208 ; 4-byte Folded Spill
	s_nop 0
	buffer_store_dword v2, off, s[0:3], s33 offset:212 ; 4-byte Folded Spill
	v_and_b32_e32 v1, 63, v31
	v_cmp_eq_u32_e64 s[6:7], 0, v1
	v_ashrrev_i32_e32 v1, 31, v59
	v_lshrrev_b32_e32 v1, 26, v1
	v_add_u32_e32 v1, v59, v1
	v_ashrrev_i32_e32 v60, 6, v1
	v_and_b32_e32 v1, 0xffffffc0, v1
	v_sub_u32_e32 v4, v59, v1
	v_lshlrev_b32_e32 v2, 11, v60
	buffer_store_dword v31, off, s[0:3], s33 offset:220 ; 4-byte Folded Spill
	s_trap 2
	v_lshl_add_u32 v3, v4, 4, v2
	buffer_store_dword v5, off, s[0:3], s33 offset:68 ; 4-byte Folded Spill
	v_subrev_u32_e32 v5, 64, v5
	v_ashrrev_i32_e32 v1, 31, v3
	v_ashrrev_i32_e32 v6, 31, v5
	buffer_store_dword v11, off, s[0:3], s33 offset:224 ; 4-byte Folded Spill
	buffer_store_dword v1, off, s[0:3], s33 offset:132 ; 4-byte Folded Spill
	buffer_store_dword v10, off, s[0:3], s33 offset:216 ; 4-byte Folded Spill
	buffer_store_dword v5, off, s[0:3], s33 offset:60 ; 4-byte Folded Spill
	buffer_store_dword v6, off, s[0:3], s33 offset:64 ; 4-byte Folded Spill
	buffer_store_dword v3, off, s[0:3], s33 offset:128 ; 4-byte Folded Spill
	v_add_u32_e32 v11, v3, v2
	buffer_load_dword v2, off, s[0:3], s33 offset:92 ; 4-byte Folded Reload
	buffer_load_dword v3, off, s[0:3], s33 offset:96 ; 4-byte Folded Reload
	v_add_co_u32_e32 v31, vcc, s18, v37
	v_addc_co_u32_e32 v1, vcc, 0, v39, vcc
	v_add_co_u32_e32 v9, vcc, 64, v5
	v_cmp_ne_u32_e64 s[12:13], 64, v10
	v_addc_co_u32_e32 v10, vcc, 0, v6, vcc
	s_cmp_gt_i32 s52, 2
	v_mov_b32_e32 v6, 0
	v_mov_b32_e32 v14, 0
	;; [unrolled: 1-line block ×3, first 2 shown]
	s_waitcnt vmcnt(0)
	v_ashrrev_i32_e32 v58, 31, v61
	s_movk_i32 s54, 0xffc0
	v_cmp_gt_i32_e64 s[14:15], 1, v4
	v_cmp_le_i32_e64 s[16:17], v4, v16
	v_lshlrev_b32_e32 v23, 11, v62
	s_mov_b64 s[60:61], 0
	v_cmp_lt_i32_e64 s[24:25], v4, v16
	s_cselect_b64 s[62:63], -1, 0
	s_add_i32 s55, s52, -2
	v_mov_b32_e32 v7, 0
	v_mov_b32_e32 v15, 0
	;; [unrolled: 1-line block ×3, first 2 shown]
	s_movk_i32 s64, 0x108
	v_mov_b32_e32 v47, 0xd0
	v_mov_b32_e32 v57, 0x88
	buffer_store_dword v4, off, s[0:3], s33 offset:108 ; 4-byte Folded Spill
	buffer_store_dword v59, off, s[0:3], s33 offset:136 ; 4-byte Folded Spill
	s_waitcnt lgkmcnt(0)
	v_and_b32_e32 v0, 1, v0
	v_cmp_eq_u32_e64 s[18:19], 1, v0
	s_xor_b64 s[72:73], s[18:19], -1
	v_cmp_eq_u64_e64 s[20:21], 0, v[2:3]
	v_cmp_ne_u64_e64 s[22:23], 0, v[2:3]
	v_mov_b32_e32 v2, v26
	v_mov_b32_e32 v3, v27
	buffer_store_dword v2, off, s[0:3], s33 offset:72 ; 4-byte Folded Spill
	s_nop 0
	buffer_store_dword v3, off, s[0:3], s33 offset:76 ; 4-byte Folded Spill
	buffer_store_dword v4, off, s[0:3], s33 offset:80 ; 4-byte Folded Spill
	;; [unrolled: 1-line block ×8, first 2 shown]
	s_nop 0
	buffer_store_dword v17, off, s[0:3], s33 offset:176 ; 4-byte Folded Spill
	buffer_store_dword v18, off, s[0:3], s33 offset:180 ; 4-byte Folded Spill
	;; [unrolled: 1-line block ×4, first 2 shown]
	s_nop 0
	buffer_store_dword v51, off, s[0:3], s33 offset:192 ; 4-byte Folded Spill
	buffer_store_dword v52, off, s[0:3], s33 offset:196 ; 4-byte Folded Spill
	;; [unrolled: 1-line block ×3, first 2 shown]
	s_branch .LBB10_73
.LBB10_71:                              ;   in Loop: Header=BB10_73 Depth=1
	s_or_b64 exec, exec, s[40:41]
.LBB10_72:                              ;   in Loop: Header=BB10_73 Depth=1
	s_or_b64 exec, exec, s[28:29]
	buffer_load_dword v0, off, s[0:3], s33 offset:204 ; 4-byte Folded Reload
	buffer_load_dword v16, off, s[0:3], s33 offset:172 ; 4-byte Folded Reload
	;; [unrolled: 1-line block ×9, first 2 shown]
	s_waitcnt vmcnt(0)
	v_add_co_u32_e32 v6, vcc, v6, v0
	v_addc_co_u32_e32 v7, vcc, 0, v7, vcc
	v_cmp_ge_u64_e32 vcc, v[6:7], v[18:19]
	s_or_b64 s[60:61], vcc, s[60:61]
	s_andn2_b64 exec, exec, s[60:61]
	s_cbranch_execz .LBB10_1010
.LBB10_73:                              ; =>This Loop Header: Depth=1
                                        ;     Child Loop BB10_78 Depth 2
                                        ;       Child Loop BB10_86 Depth 3
                                        ;       Child Loop BB10_110 Depth 3
                                        ;       Child Loop BB10_129 Depth 3
                                        ;       Child Loop BB10_191 Depth 3
                                        ;       Child Loop BB10_196 Depth 3
                                        ;       Child Loop BB10_204 Depth 3
                                        ;       Child Loop BB10_209 Depth 3
                                        ;       Child Loop BB10_159 Depth 3
                                        ;       Child Loop BB10_164 Depth 3
                                        ;         Child Loop BB10_165 Depth 4
                                        ;       Child Loop BB10_174 Depth 3
                                        ;       Child Loop BB10_179 Depth 3
                                        ;         Child Loop BB10_180 Depth 4
                                        ;       Child Loop BB10_218 Depth 3
                                        ;       Child Loop BB10_237 Depth 3
                                        ;     Child Loop BB10_255 Depth 2
                                        ;       Child Loop BB10_261 Depth 3
                                        ;       Child Loop BB10_285 Depth 3
	;; [unrolled: 1-line block ×3, first 2 shown]
                                        ;     Child Loop BB10_329 Depth 2
                                        ;       Child Loop BB10_337 Depth 3
                                        ;       Child Loop BB10_361 Depth 3
	;; [unrolled: 1-line block ×9, first 2 shown]
                                        ;     Child Loop BB10_471 Depth 2
                                        ;       Child Loop BB10_477 Depth 3
                                        ;       Child Loop BB10_501 Depth 3
	;; [unrolled: 1-line block ×3, first 2 shown]
                                        ;     Child Loop BB10_542 Depth 2
                                        ;       Child Loop BB10_545 Depth 3
                                        ;         Child Loop BB10_553 Depth 4
                                        ;         Child Loop BB10_581 Depth 4
	;; [unrolled: 1-line block ×9, first 2 shown]
                                        ;           Child Loop BB10_635 Depth 5
                                        ;         Child Loop BB10_644 Depth 4
                                        ;         Child Loop BB10_649 Depth 4
                                        ;           Child Loop BB10_650 Depth 5
                                        ;         Child Loop BB10_688 Depth 4
                                        ;         Child Loop BB10_707 Depth 4
                                        ;       Child Loop BB10_725 Depth 3
                                        ;         Child Loop BB10_731 Depth 4
                                        ;         Child Loop BB10_759 Depth 4
	;; [unrolled: 1-line block ×3, first 2 shown]
                                        ;     Child Loop BB10_804 Depth 2
                                        ;       Child Loop BB10_812 Depth 3
                                        ;       Child Loop BB10_836 Depth 3
	;; [unrolled: 1-line block ×9, first 2 shown]
                                        ;     Child Loop BB10_944 Depth 2
                                        ;       Child Loop BB10_950 Depth 3
                                        ;       Child Loop BB10_974 Depth 3
	;; [unrolled: 1-line block ×3, first 2 shown]
	v_sub_co_u32_e32 v0, vcc, v18, v6
	v_subb_co_u32_e32 v2, vcc, v19, v7, vcc
	v_cvt_f64_u32_e32 v[2:3], v2
	v_cvt_f64_u32_e32 v[4:5], v0
	v_ldexp_f64 v[2:3], v[2:3], 32
	v_add_f64 v[2:3], v[2:3], v[4:5]
	buffer_load_dword v4, off, s[0:3], s33 offset:208 ; 4-byte Folded Reload
	buffer_load_dword v5, off, s[0:3], s33 offset:212 ; 4-byte Folded Reload
	s_waitcnt vmcnt(0)
	v_max_f64 v[4:5], v[4:5], v[4:5]
	v_min_f64 v[2:3], v[4:5], v[2:3]
	v_cvt_i32_f64_e32 v0, v[2:3]
	buffer_load_dword v2, off, s[0:3], s33 offset:164 ; 4-byte Folded Reload
	buffer_load_dword v3, off, s[0:3], s33 offset:168 ; 4-byte Folded Reload
	v_max_i32_e32 v38, 0, v0
	s_waitcnt vmcnt(0)
	v_add_co_u32_e32 v16, vcc, v6, v2
	buffer_store_dword v6, off, s[0:3], s33 offset:156 ; 4-byte Folded Spill
	s_nop 0
	buffer_store_dword v7, off, s[0:3], s33 offset:160 ; 4-byte Folded Spill
	s_waitcnt vmcnt(2)
	v_addc_co_u32_e32 v17, vcc, v7, v3, vcc
	buffer_load_dword v2, off, s[0:3], s33 offset:140 ; 4-byte Folded Reload
	buffer_load_dword v3, off, s[0:3], s33 offset:144 ; 4-byte Folded Reload
	;; [unrolled: 1-line block ×4, first 2 shown]
	s_waitcnt vmcnt(0)
	flat_load_dword v2, v[2:3]
	s_waitcnt vmcnt(0) lgkmcnt(0)
	v_ashrrev_i32_e32 v3, 31, v2
	v_mul_lo_u32 v4, v4, v2
	v_mad_u64_u32 v[54:55], s[26:27], v5, v2, v[16:17]
	v_add_co_u32_e32 v2, vcc, v52, v16
	buffer_store_dword v16, off, s[0:3], s33 offset:112 ; 4-byte Folded Spill
	s_nop 0
	buffer_store_dword v17, off, s[0:3], s33 offset:116 ; 4-byte Folded Spill
	v_mul_lo_u32 v3, v5, v3
	v_cmp_lt_i32_e64 s[26:27], 0, v0
	v_add3_u32 v55, v4, v55, v3
	v_addc_co_u32_e32 v3, vcc, v53, v17, vcc
	v_add_co_u32_e32 v4, vcc, v50, v54
	v_addc_co_u32_e32 v5, vcc, v51, v55, vcc
	v_cmp_ne_u64_e32 vcc, v[2:3], v[4:5]
	v_add_u32_e32 v2, 31, v38
	v_ashrrev_i32_e32 v3, 31, v2
	v_lshrrev_b32_e32 v3, 27, v3
	v_add_u32_e32 v2, v2, v3
	v_ashrrev_i32_e32 v2, 5, v2
	v_lshlrev_b32_e32 v2, 4, v2
	v_max_i32_e32 v2, s53, v2
	buffer_store_dword v2, off, s[0:3], s33 offset:124 ; 4-byte Folded Spill
	s_mov_b64 s[28:29], exec
	buffer_load_dword v50, off, s[0:3], s33 offset:92 ; 4-byte Folded Reload
	buffer_load_dword v51, off, s[0:3], s33 offset:96 ; 4-byte Folded Reload
	;; [unrolled: 1-line block ×3, first 2 shown]
	s_and_b64 s[40:41], s[28:29], vcc
	s_xor_b64 s[74:75], s[40:41], s[28:29]
	s_mov_b64 exec, s[40:41]
	s_cbranch_execz .LBB10_324
; %bb.74:                               ;   in Loop: Header=BB10_73 Depth=1
	buffer_load_dword v52, off, s[0:3], s33 offset:124 ; 4-byte Folded Reload
	v_mov_b32_e32 v0, 0
	v_mov_b32_e32 v22, 0
	s_and_saveexec_b64 s[76:77], s[26:27]
	s_cbranch_execz .LBB10_251
; %bb.75:                               ;   in Loop: Header=BB10_73 Depth=1
	buffer_load_dword v52, off, s[0:3], s33 offset:124 ; 4-byte Folded Reload
	s_mov_b32 s65, 1
	s_mov_b64 s[88:89], -1
	v_mov_b32_e32 v22, 0
	s_mov_b64 s[78:79], 0
	s_branch .LBB10_78
.LBB10_76:                              ;   in Loop: Header=BB10_78 Depth=2
	s_or_b64 exec, exec, s[40:41]
	v_add_co_u32_e32 v48, vcc, 2, v48
	v_addc_co_u32_e32 v49, vcc, 0, v49, vcc
	flat_store_dwordx2 v[24:25], v[48:49]
.LBB10_77:                              ;   in Loop: Header=BB10_78 Depth=2
	s_or_b64 exec, exec, s[28:29]
	v_add_u32_e32 v22, v52, v22
	v_cmp_ge_i32_e32 vcc, v22, v38
	s_xor_b64 s[28:29], s[88:89], -1
	s_or_b64 s[28:29], s[28:29], vcc
	s_and_b64 s[28:29], exec, s[28:29]
	s_or_b64 s[78:79], s[28:29], s[78:79]
	s_mov_b64 s[88:89], 0
	v_mov_b32_e32 v0, s65
	s_mov_b32 s65, 2
	s_andn2_b64 exec, exec, s[78:79]
	s_cbranch_execz .LBB10_250
.LBB10_78:                              ;   Parent Loop BB10_73 Depth=1
                                        ; =>  This Loop Header: Depth=2
                                        ;       Child Loop BB10_86 Depth 3
                                        ;       Child Loop BB10_110 Depth 3
	;; [unrolled: 1-line block ×9, first 2 shown]
                                        ;         Child Loop BB10_165 Depth 4
                                        ;       Child Loop BB10_174 Depth 3
                                        ;       Child Loop BB10_179 Depth 3
                                        ;         Child Loop BB10_180 Depth 4
                                        ;       Child Loop BB10_218 Depth 3
                                        ;       Child Loop BB10_237 Depth 3
	s_and_saveexec_b64 s[28:29], s[4:5]
	s_cbranch_execz .LBB10_80
; %bb.79:                               ;   in Loop: Header=BB10_78 Depth=2
	s_trap 2
	ds_read2_b64 v[2:5], v0 offset1:1
	buffer_load_dword v6, off, s[0:3], s33 offset:112 ; 4-byte Folded Reload
	buffer_load_dword v7, off, s[0:3], s33 offset:116 ; 4-byte Folded Reload
	s_waitcnt vmcnt(0) lgkmcnt(0)
	v_add_co_u32_e32 v0, vcc, v2, v6
	s_waitcnt vmcnt(0)
	v_addc_co_u32_e32 v3, vcc, v3, v7, vcc
	v_ashrrev_i32_e32 v6, 31, v22
	v_add_co_u32_e32 v2, vcc, v0, v22
	v_addc_co_u32_e32 v3, vcc, v3, v6, vcc
	ds_write_b64 v0, v[2:3]
	v_add_co_u32_e32 v0, vcc, v4, v54
	v_addc_co_u32_e32 v3, vcc, v5, v55, vcc
	v_add_co_u32_e32 v2, vcc, v0, v22
	v_addc_co_u32_e32 v3, vcc, v3, v6, vcc
	ds_write_b64 v0, v[2:3]
	ds_read_b64 v[2:3], v0
	s_waitcnt lgkmcnt(0)
	v_add_co_u32_e32 v0, vcc, v2, v54
	v_addc_co_u32_e32 v4, vcc, v3, v55, vcc
	v_add_co_u32_e32 v0, vcc, v0, v22
	v_addc_co_u32_e32 v4, vcc, v4, v6, vcc
	v_cmp_ne_u64_e32 vcc, 0, v[2:3]
	v_cndmask_b32_e32 v3, 0, v4, vcc
	v_cndmask_b32_e32 v2, 0, v0, vcc
	ds_write_b64 v0, v[2:3]
.LBB10_80:                              ;   in Loop: Header=BB10_78 Depth=2
	s_or_b64 exec, exec, s[28:29]
	v_sub_u32_e32 v0, v38, v22
	s_waitcnt vmcnt(0)
	v_min_i32_e32 v52, v52, v0
	v_and_b32_e32 v0, 8, v56
	v_cmp_ne_u32_e32 vcc, 0, v0
	s_and_saveexec_b64 s[40:41], vcc
	s_cbranch_execz .LBB10_102
; %bb.81:                               ;   in Loop: Header=BB10_78 Depth=2
	v_add_co_u32_e32 v4, vcc, 8, v32
	v_addc_co_u32_e32 v5, vcc, 0, v33, vcc
	v_add_co_u32_e32 v2, vcc, 2, v48
	v_addc_co_u32_e32 v3, vcc, 0, v49, vcc
	v_cmp_lt_u64_e32 vcc, v[4:5], v[2:3]
	s_and_saveexec_b64 s[42:43], vcc
	s_cbranch_execz .LBB10_93
; %bb.82:                               ;   in Loop: Header=BB10_78 Depth=2
	v_and_b32_e32 v0, 64, v56
	s_mov_b32 s66, 0
	v_cmp_eq_u32_e32 vcc, 0, v0
	s_mov_b64 s[90:91], 0
                                        ; implicit-def: $sgpr92_sgpr93
                                        ; implicit-def: $sgpr94_sgpr95
                                        ; implicit-def: $sgpr30_sgpr31
	s_branch .LBB10_86
.LBB10_83:                              ;   in Loop: Header=BB10_86 Depth=3
	s_waitcnt vmcnt(0) lgkmcnt(0)
	v_add_co_u32_e64 v4, s[28:29], 8, v32
	v_addc_co_u32_e64 v5, s[28:29], 0, v33, s[28:29]
	v_cmp_ge_u64_e64 s[28:29], v[4:5], v[2:3]
	s_or_b64 s[38:39], s[38:39], exec
	s_orn2_b64 s[36:37], s[28:29], exec
.LBB10_84:                              ;   in Loop: Header=BB10_86 Depth=3
	s_or_b64 exec, exec, s[50:51]
	s_andn2_b64 s[28:29], s[30:31], exec
	s_and_b64 s[30:31], s[38:39], exec
	s_or_b64 s[30:31], s[28:29], s[30:31]
	s_andn2_b64 s[28:29], s[94:95], exec
	s_and_b64 s[94:95], s[36:37], exec
	s_or_b64 s[94:95], s[28:29], s[94:95]
.LBB10_85:                              ;   in Loop: Header=BB10_86 Depth=3
	s_or_b64 exec, exec, s[34:35]
	s_and_b64 s[28:29], exec, s[94:95]
	s_or_b64 s[90:91], s[28:29], s[90:91]
	s_andn2_b64 s[28:29], s[92:93], exec
	s_and_b64 s[92:93], s[30:31], exec
	s_or_b64 s[92:93], s[28:29], s[92:93]
	s_andn2_b64 exec, exec, s[90:91]
	s_cbranch_execz .LBB10_90
.LBB10_86:                              ;   Parent Loop BB10_73 Depth=1
                                        ;     Parent Loop BB10_78 Depth=2
                                        ; =>    This Inner Loop Header: Depth=3
	s_sleep 1
	s_waitcnt vmcnt(0) lgkmcnt(0)
	flat_load_dwordx2 v[32:33], v[24:25] glc
	s_or_b64 s[30:31], s[30:31], exec
	s_or_b64 s[94:95], s[94:95], exec
                                        ; implicit-def: $vgpr0
	s_and_saveexec_b64 s[34:35], vcc
	s_cbranch_execz .LBB10_85
; %bb.87:                               ;   in Loop: Header=BB10_86 Depth=3
	s_cmpk_lt_i32 s66, 0x270f
	s_cselect_b64 s[48:49], -1, 0
	s_cmpk_gt_i32 s66, 0x270e
	s_mov_b64 s[36:37], -1
	s_cbranch_scc0 .LBB10_89
; %bb.88:                               ;   in Loop: Header=BB10_86 Depth=3
	s_trap 2
	ds_read_b64 v[4:5], v0
	s_andn2_b64 s[48:49], s[48:49], exec
	s_mov_b32 s66, 0
	s_mov_b64 s[38:39], 0
	s_waitcnt vmcnt(0) lgkmcnt(0)
	flat_load_dword v0, v[4:5] glc
	s_waitcnt vmcnt(0) lgkmcnt(0)
	buffer_wbinvl1_vol
	v_cmp_eq_u32_e64 s[28:29], 0, v0
	s_and_b64 s[28:29], s[28:29], exec
	s_or_b64 s[48:49], s[48:49], s[28:29]
	s_and_saveexec_b64 s[50:51], s[48:49]
	s_cbranch_execz .LBB10_84
	s_branch .LBB10_83
.LBB10_89:                              ;   in Loop: Header=BB10_86 Depth=3
	s_add_i32 s66, s66, 1
	s_mov_b64 s[38:39], -1
                                        ; implicit-def: $vgpr0
	s_and_saveexec_b64 s[50:51], s[48:49]
	s_cbranch_execz .LBB10_84
	s_branch .LBB10_83
.LBB10_90:                              ;   in Loop: Header=BB10_78 Depth=2
	s_or_b64 exec, exec, s[90:91]
	s_xor_b64 s[28:29], s[92:93], -1
	s_and_saveexec_b64 s[90:91], s[28:29]
	s_xor_b64 s[28:29], exec, s[90:91]
	s_cbranch_execz .LBB10_92
; %bb.91:                               ;   in Loop: Header=BB10_78 Depth=2
	v_or_b32_e32 v56, 64, v56
	s_waitcnt lgkmcnt(0)
	ds_write_b32 v0, v0
	s_trap 2
.LBB10_92:                              ;   in Loop: Header=BB10_78 Depth=2
	s_or_b64 exec, exec, s[28:29]
.LBB10_93:                              ;   in Loop: Header=BB10_78 Depth=2
	s_or_b64 exec, exec, s[42:43]
	v_and_b32_e32 v0, 0x100, v56
	v_cmp_ne_u32_e32 vcc, 0, v0
	v_and_b32_e32 v0, 7, v48
	s_mov_b64 s[28:29], -1
	;;#ASMSTART
	s_wakeup
	;;#ASMEND
                                        ; implicit-def: $vgpr4_vgpr5
	s_and_saveexec_b64 s[42:43], vcc
	s_cbranch_execz .LBB10_97
; %bb.94:                               ;   in Loop: Header=BB10_78 Depth=2
	v_mad_u64_u32 v[48:49], s[28:29], v0, 24, v[26:27]
	v_ashrrev_i32_e32 v53, 31, v52
	flat_load_dword v4, v[48:49]
	s_nop 0
	flat_store_dwordx2 v[48:49], v[52:53] offset:8
	s_waitcnt vmcnt(0) lgkmcnt(0)
	v_cmp_ne_u32_e32 vcc, 1, v4
	v_cmp_eq_u32_e64 s[28:29], 1, v4
                                        ; implicit-def: $vgpr4_vgpr5
	s_and_saveexec_b64 s[90:91], s[28:29]
	s_cbranch_execz .LBB10_96
; %bb.95:                               ;   in Loop: Header=BB10_78 Depth=2
	flat_load_dword v4, v[48:49] offset:4 glc
	s_waitcnt vmcnt(0) lgkmcnt(0)
	v_ashrrev_i32_e32 v5, 31, v4
.LBB10_96:                              ;   in Loop: Header=BB10_78 Depth=2
	s_or_b64 exec, exec, s[90:91]
	s_orn2_b64 s[28:29], vcc, exec
.LBB10_97:                              ;   in Loop: Header=BB10_78 Depth=2
	s_or_b64 exec, exec, s[42:43]
	s_and_saveexec_b64 s[42:43], s[28:29]
; %bb.98:                               ;   in Loop: Header=BB10_78 Depth=2
	v_mad_i64_i32 v[4:5], s[28:29], v0, v61, 0
; %bb.99:                               ;   in Loop: Header=BB10_78 Depth=2
	s_or_b64 exec, exec, s[42:43]
	v_add_co_u32_e32 v4, vcc, v12, v4
	v_addc_co_u32_e32 v5, vcc, v13, v5, vcc
	ds_write_b64 v0, v[4:5] offset:792
	v_and_b32_e32 v0, 0x2000, v56
	v_cmp_ne_u32_e32 vcc, 0, v0
	s_and_saveexec_b64 s[28:29], vcc
	s_cbranch_execz .LBB10_101
; %bb.100:                              ;   in Loop: Header=BB10_78 Depth=2
	ds_read_b64 v[4:5], v0 offset:872
	s_waitcnt lgkmcnt(0)
	v_add_co_u32_e32 v4, vcc, 1, v4
	v_addc_co_u32_e32 v5, vcc, 0, v5, vcc
	ds_write_b64 v0, v[4:5] offset:872
.LBB10_101:                             ;   in Loop: Header=BB10_78 Depth=2
	s_or_b64 exec, exec, s[28:29]
	v_mov_b32_e32 v49, v3
	v_mov_b32_e32 v48, v2
.LBB10_102:                             ;   in Loop: Header=BB10_78 Depth=2
	s_or_b64 exec, exec, s[40:41]
	s_and_saveexec_b64 s[28:29], s[12:13]
	s_cbranch_execz .LBB10_121
; %bb.103:                              ;   in Loop: Header=BB10_78 Depth=2
	s_and_saveexec_b64 s[40:41], s[58:59]
	s_xor_b64 s[40:41], exec, s[40:41]
	s_cbranch_execz .LBB10_118
; %bb.104:                              ;   in Loop: Header=BB10_78 Depth=2
	s_and_saveexec_b64 s[42:43], s[6:7]
	s_cbranch_execz .LBB10_117
; %bb.105:                              ;   in Loop: Header=BB10_78 Depth=2
	s_mov_b64 s[92:93], exec
	v_mbcnt_lo_u32_b32 v0, s92, 0
	v_mbcnt_hi_u32_b32 v0, s93, v0
	v_cmp_eq_u32_e32 vcc, 0, v0
	s_waitcnt vmcnt(0) lgkmcnt(0)
	buffer_wbinvl1_vol
	s_and_saveexec_b64 s[90:91], vcc
	s_cbranch_execz .LBB10_107
; %bb.106:                              ;   in Loop: Header=BB10_78 Depth=2
	s_bcnt1_i32_b64 s92, s[92:93]
	v_mov_b32_e32 v34, s92
	ds_add_u64 v0, v[34:35]
	s_trap 2
.LBB10_107:                             ;   in Loop: Header=BB10_78 Depth=2
	s_or_b64 exec, exec, s[90:91]
	s_trap 2
	ds_read_b64 v[2:3], v0
	s_waitcnt lgkmcnt(0)
	v_add_co_u32_e32 v14, vcc, v14, v62
	v_addc_co_u32_e32 v15, vcc, 0, v15, vcc
	v_cmp_lt_u64_e32 vcc, v[2:3], v[14:15]
	s_and_saveexec_b64 s[90:91], vcc
	s_cbranch_execz .LBB10_116
; %bb.108:                              ;   in Loop: Header=BB10_78 Depth=2
	s_mov_b32 s38, 0
	s_mov_b64 s[92:93], 0
                                        ; implicit-def: $sgpr94_sgpr95
                                        ; implicit-def: $sgpr30_sgpr31
	s_branch .LBB10_110
.LBB10_109:                             ;   in Loop: Header=BB10_110 Depth=3
	s_or_b64 exec, exec, s[36:37]
	s_and_b64 vcc, exec, vcc
	s_or_b64 s[92:93], vcc, s[92:93]
	s_andn2_b64 s[94:95], s[94:95], exec
	s_and_b64 vcc, s[30:31], exec
	s_or_b64 s[94:95], s[94:95], vcc
	s_andn2_b64 exec, exec, s[92:93]
	s_cbranch_execz .LBB10_114
.LBB10_110:                             ;   Parent Loop BB10_73 Depth=1
                                        ;     Parent Loop BB10_78 Depth=2
                                        ; =>    This Inner Loop Header: Depth=3
	s_add_i32 s38, s38, 1
	s_cmpk_lg_i32 s38, 0x2710
	s_cselect_b64 s[34:35], -1, 0
	s_and_b64 vcc, exec, s[34:35]
	s_cbranch_vccz .LBB10_112
; %bb.111:                              ;   in Loop: Header=BB10_110 Depth=3
	s_mov_b64 vcc, -1
	s_or_b64 s[30:31], s[30:31], exec
	s_and_saveexec_b64 s[36:37], s[34:35]
	s_cbranch_execz .LBB10_109
	s_branch .LBB10_113
.LBB10_112:                             ;   in Loop: Header=BB10_110 Depth=3
	s_trap 2
	ds_read_b64 v[2:3], v0
	s_andn2_b64 s[34:35], s[34:35], exec
	s_mov_b32 s38, 0
	s_waitcnt lgkmcnt(0)
	flat_load_dword v0, v[2:3] glc
	s_waitcnt vmcnt(0) lgkmcnt(0)
	buffer_wbinvl1_vol
	v_cmp_eq_u32_e32 vcc, 0, v0
	s_and_b64 vcc, vcc, exec
	s_or_b64 s[34:35], s[34:35], vcc
	s_mov_b64 vcc, -1
	s_or_b64 s[30:31], s[30:31], exec
	s_and_saveexec_b64 s[36:37], s[34:35]
	s_cbranch_execz .LBB10_109
.LBB10_113:                             ;   in Loop: Header=BB10_110 Depth=3
	s_sleep 1
	s_trap 2
	ds_read_b64 v[2:3], v0
	s_waitcnt lgkmcnt(0)
	s_andn2_b64 s[30:31], s[30:31], exec
	v_cmp_ge_u64_e32 vcc, v[2:3], v[14:15]
	s_orn2_b64 vcc, vcc, exec
	s_branch .LBB10_109
.LBB10_114:                             ;   in Loop: Header=BB10_78 Depth=2
	s_or_b64 exec, exec, s[92:93]
	s_and_saveexec_b64 s[92:93], s[94:95]
	s_xor_b64 s[92:93], exec, s[92:93]
	s_cbranch_execz .LBB10_116
; %bb.115:                              ;   in Loop: Header=BB10_78 Depth=2
	ds_write_b32 v0, v46
	s_trap 2
.LBB10_116:                             ;   in Loop: Header=BB10_78 Depth=2
	s_or_b64 exec, exec, s[90:91]
	;;#ASMSTART
	s_wakeup
	;;#ASMEND
.LBB10_117:                             ;   in Loop: Header=BB10_78 Depth=2
	s_or_b64 exec, exec, s[42:43]
.LBB10_118:                             ;   in Loop: Header=BB10_78 Depth=2
	s_andn2_saveexec_b64 s[40:41], s[40:41]
	s_cbranch_execz .LBB10_120
; %bb.119:                              ;   in Loop: Header=BB10_78 Depth=2
	s_waitcnt vmcnt(0) lgkmcnt(0)
	buffer_wbinvl1_vol
	s_barrier
.LBB10_120:                             ;   in Loop: Header=BB10_78 Depth=2
	s_or_b64 exec, exec, s[40:41]
.LBB10_121:                             ;   in Loop: Header=BB10_78 Depth=2
	s_or_b64 exec, exec, s[28:29]
	s_trap 2
	ds_read_b32 v0, v0
	v_and_b32_e32 v2, 0x4000, v56
	v_cmp_ne_u32_e32 vcc, 0, v2
	s_xor_b64 s[28:29], s[10:11], -1
	s_and_b64 s[40:41], s[28:29], vcc
	s_and_saveexec_b64 s[28:29], s[40:41]
	s_cbranch_execz .LBB10_140
; %bb.122:                              ;   in Loop: Header=BB10_78 Depth=2
	s_and_saveexec_b64 s[40:41], s[58:59]
	s_xor_b64 s[40:41], exec, s[40:41]
	s_cbranch_execz .LBB10_137
; %bb.123:                              ;   in Loop: Header=BB10_78 Depth=2
	s_and_saveexec_b64 s[42:43], s[6:7]
	s_cbranch_execz .LBB10_136
; %bb.124:                              ;   in Loop: Header=BB10_78 Depth=2
	s_mov_b64 s[92:93], exec
	v_mbcnt_lo_u32_b32 v2, s92, 0
	v_mbcnt_hi_u32_b32 v2, s93, v2
	v_cmp_eq_u32_e32 vcc, 0, v2
	s_waitcnt vmcnt(0) lgkmcnt(0)
	buffer_wbinvl1_vol
	s_and_saveexec_b64 s[90:91], vcc
	s_cbranch_execz .LBB10_126
; %bb.125:                              ;   in Loop: Header=BB10_78 Depth=2
	s_bcnt1_i32_b64 s92, s[92:93]
	v_mov_b32_e32 v34, s92
	ds_add_u64 v0, v[34:35]
	s_trap 2
.LBB10_126:                             ;   in Loop: Header=BB10_78 Depth=2
	s_or_b64 exec, exec, s[90:91]
	s_trap 2
	ds_read_b64 v[2:3], v0
	s_waitcnt lgkmcnt(0)
	v_add_co_u32_e32 v14, vcc, v14, v62
	v_addc_co_u32_e32 v15, vcc, 0, v15, vcc
	v_cmp_lt_u64_e32 vcc, v[2:3], v[14:15]
	s_and_saveexec_b64 s[90:91], vcc
	s_cbranch_execz .LBB10_135
; %bb.127:                              ;   in Loop: Header=BB10_78 Depth=2
	s_mov_b32 s38, 0
	s_mov_b64 s[92:93], 0
                                        ; implicit-def: $sgpr94_sgpr95
                                        ; implicit-def: $sgpr30_sgpr31
	s_branch .LBB10_129
.LBB10_128:                             ;   in Loop: Header=BB10_129 Depth=3
	s_or_b64 exec, exec, s[36:37]
	s_and_b64 vcc, exec, vcc
	s_or_b64 s[92:93], vcc, s[92:93]
	s_andn2_b64 s[94:95], s[94:95], exec
	s_and_b64 vcc, s[30:31], exec
	s_or_b64 s[94:95], s[94:95], vcc
	s_andn2_b64 exec, exec, s[92:93]
	s_cbranch_execz .LBB10_133
.LBB10_129:                             ;   Parent Loop BB10_73 Depth=1
                                        ;     Parent Loop BB10_78 Depth=2
                                        ; =>    This Inner Loop Header: Depth=3
	s_add_i32 s38, s38, 1
	s_cmpk_lg_i32 s38, 0x2710
	s_cselect_b64 s[34:35], -1, 0
	s_and_b64 vcc, exec, s[34:35]
	s_cbranch_vccz .LBB10_131
; %bb.130:                              ;   in Loop: Header=BB10_129 Depth=3
	s_mov_b64 vcc, -1
	s_or_b64 s[30:31], s[30:31], exec
	s_and_saveexec_b64 s[36:37], s[34:35]
	s_cbranch_execz .LBB10_128
	s_branch .LBB10_132
.LBB10_131:                             ;   in Loop: Header=BB10_129 Depth=3
	s_trap 2
	ds_read_b64 v[2:3], v0
	s_andn2_b64 s[34:35], s[34:35], exec
	s_mov_b32 s38, 0
	s_waitcnt lgkmcnt(0)
	flat_load_dword v2, v[2:3] glc
	s_waitcnt vmcnt(0) lgkmcnt(0)
	buffer_wbinvl1_vol
	v_cmp_eq_u32_e32 vcc, 0, v2
	s_and_b64 vcc, vcc, exec
	s_or_b64 s[34:35], s[34:35], vcc
	s_mov_b64 vcc, -1
	s_or_b64 s[30:31], s[30:31], exec
	s_and_saveexec_b64 s[36:37], s[34:35]
	s_cbranch_execz .LBB10_128
.LBB10_132:                             ;   in Loop: Header=BB10_129 Depth=3
	s_sleep 1
	s_trap 2
	ds_read_b64 v[2:3], v0
	s_waitcnt lgkmcnt(0)
	s_andn2_b64 s[30:31], s[30:31], exec
	v_cmp_ge_u64_e32 vcc, v[2:3], v[14:15]
	s_orn2_b64 vcc, vcc, exec
	s_branch .LBB10_128
.LBB10_133:                             ;   in Loop: Header=BB10_78 Depth=2
	s_or_b64 exec, exec, s[92:93]
	s_and_saveexec_b64 s[92:93], s[94:95]
	s_xor_b64 s[92:93], exec, s[92:93]
	s_cbranch_execz .LBB10_135
; %bb.134:                              ;   in Loop: Header=BB10_78 Depth=2
	ds_write_b32 v0, v46
	s_trap 2
.LBB10_135:                             ;   in Loop: Header=BB10_78 Depth=2
	s_or_b64 exec, exec, s[90:91]
	;;#ASMSTART
	s_wakeup
	;;#ASMEND
.LBB10_136:                             ;   in Loop: Header=BB10_78 Depth=2
	s_or_b64 exec, exec, s[42:43]
.LBB10_137:                             ;   in Loop: Header=BB10_78 Depth=2
	s_andn2_saveexec_b64 s[40:41], s[40:41]
	s_cbranch_execz .LBB10_139
; %bb.138:                              ;   in Loop: Header=BB10_78 Depth=2
	s_waitcnt vmcnt(0) lgkmcnt(0)
	buffer_wbinvl1_vol
	s_barrier
.LBB10_139:                             ;   in Loop: Header=BB10_78 Depth=2
	s_or_b64 exec, exec, s[40:41]
.LBB10_140:                             ;   in Loop: Header=BB10_78 Depth=2
	s_or_b64 exec, exec, s[28:29]
	s_trap 2
	s_waitcnt lgkmcnt(0)
	ds_read_b64 v[40:41], v0
	s_waitcnt lgkmcnt(0)
	v_cmp_eq_u64_e32 vcc, 0, v[40:41]
	s_cbranch_vccnz .LBB10_149
; %bb.141:                              ;   in Loop: Header=BB10_78 Depth=2
	s_trap 2
	ds_read_b64 v[42:43], v0
	s_waitcnt lgkmcnt(0)
	v_cmp_eq_u64_e32 vcc, 0, v[42:43]
	s_cbranch_vccnz .LBB10_149
; %bb.142:                              ;   in Loop: Header=BB10_78 Depth=2
	s_trap 2
	ds_read_b64 v[44:45], v0
	v_cmp_eq_u32_e64 s[28:29], 0, v0
	v_cndmask_b32_e64 v34, 0, v52, s[28:29]
	s_waitcnt lgkmcnt(0)
	v_cmp_ne_u64_e32 vcc, 0, v[44:45]
	s_cbranch_vccz .LBB10_155
; %bb.143:                              ;   in Loop: Header=BB10_78 Depth=2
	s_mov_b64 s[40:41], -1
	s_and_saveexec_b64 s[28:29], s[14:15]
	s_cbranch_execz .LBB10_145
; %bb.144:                              ;   in Loop: Header=BB10_78 Depth=2
	ds_read_b32 v0, v0 offset:720
	s_waitcnt lgkmcnt(0)
	v_and_b32_e32 v0, 15, v0
	v_cmp_eq_u32_e32 vcc, 0, v0
	s_orn2_b64 s[40:41], vcc, exec
.LBB10_145:                             ;   in Loop: Header=BB10_78 Depth=2
	s_or_b64 exec, exec, s[28:29]
	s_and_saveexec_b64 s[28:29], s[16:17]
	s_cbranch_execz .LBB10_147
; %bb.146:                              ;   in Loop: Header=BB10_78 Depth=2
	ds_read_b32 v0, v0 offset:784
	s_waitcnt lgkmcnt(0)
	v_and_b32_e32 v0, 15, v0
	v_cmp_eq_u32_e32 vcc, 0, v0
	s_and_b64 s[42:43], s[40:41], vcc
	s_andn2_b64 s[40:41], s[40:41], exec
	s_and_b64 s[42:43], s[42:43], exec
	s_or_b64 s[40:41], s[40:41], s[42:43]
.LBB10_147:                             ;   in Loop: Header=BB10_78 Depth=2
	s_or_b64 exec, exec, s[28:29]
	s_xor_b64 s[40:41], s[40:41], -1
	v_cndmask_b32_e64 v0, 0, 1, s[40:41]
	s_mov_b64 s[28:29], -1
	v_mov_b32_e32 v53, 0
	v_cmp_ne_u32_e32 vcc, 0, v0
	v_mov_b32_e32 v46, v34
	v_mov_b32_e32 v47, v59
	;; [unrolled: 1-line block ×3, first 2 shown]
	s_cbranch_vccz .LBB10_157
; %bb.148:                              ;   in Loop: Header=BB10_78 Depth=2
	s_and_saveexec_b64 s[42:43], s[28:29]
	s_cbranch_execnz .LBB10_172
	s_branch .LBB10_182
.LBB10_149:                             ;   in Loop: Header=BB10_78 Depth=2
	s_mov_b64 s[28:29], 0
	s_and_saveexec_b64 s[40:41], s[12:13]
	s_cbranch_execnz .LBB10_211
.LBB10_150:                             ;   in Loop: Header=BB10_78 Depth=2
	s_or_b64 exec, exec, s[40:41]
                                        ; implicit-def: $vgpr0
	s_and_saveexec_b64 s[40:41], s[18:19]
	s_xor_b64 s[40:41], exec, s[40:41]
	s_cbranch_execz .LBB10_229
.LBB10_151:                             ;   in Loop: Header=BB10_78 Depth=2
	v_and_b32_e32 v2, 16, v56
	v_cmp_ne_u32_e32 vcc, 0, v2
	v_and_b32_e32 v0, 16, v56
	s_and_b64 s[42:43], vcc, s[28:29]
	s_and_saveexec_b64 s[28:29], s[42:43]
	s_cbranch_execz .LBB10_153
; %bb.152:                              ;   in Loop: Header=BB10_78 Depth=2
	v_mov_b32_e32 v0, 1
	s_waitcnt vmcnt(0) lgkmcnt(0)
	buffer_wbinvl1_vol
.LBB10_153:                             ;   in Loop: Header=BB10_78 Depth=2
	s_or_b64 exec, exec, s[28:29]
	s_andn2_saveexec_b64 s[28:29], s[40:41]
	s_cbranch_execnz .LBB10_230
.LBB10_154:                             ;   in Loop: Header=BB10_78 Depth=2
	s_or_b64 exec, exec, s[28:29]
	v_cmp_ne_u32_e32 vcc, 0, v0
	s_and_saveexec_b64 s[28:29], vcc
	s_cbranch_execz .LBB10_77
	s_branch .LBB10_248
.LBB10_155:                             ;   in Loop: Header=BB10_78 Depth=2
	s_cbranch_execnz .LBB10_183
.LBB10_156:                             ;   in Loop: Header=BB10_78 Depth=2
	v_cmp_lt_i32_e64 s[28:29], 0, v34
	s_and_saveexec_b64 s[40:41], s[12:13]
	s_cbranch_execnz .LBB10_211
	s_branch .LBB10_150
.LBB10_157:                             ;   in Loop: Header=BB10_78 Depth=2
	v_ashrrev_i32_e32 v0, 31, v34
	v_lshrrev_b32_e32 v0, 21, v0
	v_add_u32_e32 v0, v34, v0
	v_ashrrev_i32_e32 v0, 11, v0
	v_sub_u32_e32 v8, v0, v60
	v_cmp_lt_i32_e32 vcc, 0, v8
	s_and_saveexec_b64 s[28:29], vcc
	s_cbranch_execz .LBB10_161
; %bb.158:                              ;   in Loop: Header=BB10_78 Depth=2
	buffer_load_dword v6, off, s[0:3], s33 offset:128 ; 4-byte Folded Reload
	buffer_load_dword v7, off, s[0:3], s33 offset:132 ; 4-byte Folded Reload
	s_mov_b64 s[40:41], 0
	s_waitcnt vmcnt(0)
	v_add_co_u32_e32 v2, vcc, v40, v6
	v_addc_co_u32_e32 v3, vcc, v41, v7, vcc
	v_add_co_u32_e32 v4, vcc, v42, v6
	v_addc_co_u32_e32 v5, vcc, v43, v7, vcc
	;; [unrolled: 2-line block ×3, first 2 shown]
.LBB10_159:                             ;   Parent Loop BB10_73 Depth=1
                                        ;     Parent Loop BB10_78 Depth=2
                                        ; =>    This Inner Loop Header: Depth=3
	global_load_dwordx4 v[16:19], v[2:3], off glc slc
	global_load_dwordx4 v[26:29], v[2:3], off offset:1024 glc slc
	v_add_co_u32_e32 v2, vcc, v2, v23
	v_addc_co_u32_e32 v3, vcc, 0, v3, vcc
	v_sub_u32_e32 v8, v8, v62
	v_cmp_gt_i32_e32 vcc, 1, v8
	s_or_b64 s[40:41], vcc, s[40:41]
	s_waitcnt vmcnt(1)
	global_store_dwordx4 v[4:5], v[16:19], off glc slc
	s_waitcnt vmcnt(1)
	global_store_dwordx4 v[4:5], v[26:29], off offset:1024 glc slc
	global_store_dwordx4 v[46:47], v[16:19], off glc slc
	global_store_dwordx4 v[46:47], v[26:29], off offset:1024 glc slc
	v_add_co_u32_e32 v4, vcc, v4, v23
	v_addc_co_u32_e32 v5, vcc, 0, v5, vcc
	v_add_co_u32_e32 v46, vcc, v46, v23
	v_addc_co_u32_e32 v47, vcc, 0, v47, vcc
	s_andn2_b64 exec, exec, s[40:41]
	s_cbranch_execnz .LBB10_159
; %bb.160:                              ;   in Loop: Header=BB10_78 Depth=2
	s_or_b64 exec, exec, s[40:41]
	buffer_load_dword v26, off, s[0:3], s33 offset:72 ; 4-byte Folded Reload
	buffer_load_dword v27, off, s[0:3], s33 offset:76 ; 4-byte Folded Reload
	;; [unrolled: 1-line block ×5, first 2 shown]
.LBB10_161:                             ;   in Loop: Header=BB10_78 Depth=2
	s_or_b64 exec, exec, s[28:29]
	v_lshlrev_b32_e32 v0, 11, v0
	v_cmp_ne_u32_e32 vcc, v34, v0
	s_mov_b64 s[28:29], 0
	v_mov_b32_e32 v53, 0
                                        ; implicit-def: $vgpr46
                                        ; implicit-def: $vgpr47
                                        ; implicit-def: $vgpr2
	s_and_saveexec_b64 s[90:91], vcc
	s_cbranch_execz .LBB10_171
; %bb.162:                              ;   in Loop: Header=BB10_78 Depth=2
	buffer_load_dword v4, off, s[0:3], s33 offset:108 ; 4-byte Folded Reload
	v_lshlrev_b32_e32 v2, 6, v8
	v_sub_u32_e32 v3, v34, v0
	s_waitcnt vmcnt(0)
	v_sub_u32_e32 v2, v4, v2
	v_ashrrev_i32_e32 v4, 31, v2
	v_lshrrev_b32_e32 v4, 26, v4
	v_add_u32_e32 v4, v2, v4
	v_ashrrev_i32_e32 v5, 6, v4
	v_and_b32_e32 v4, 0xffffffc0, v4
	v_sub_u32_e32 v8, v2, v4
	v_ashrrev_i32_e32 v4, 31, v3
	v_lshrrev_b32_e32 v4, 22, v4
	v_add_u32_e32 v4, v3, v4
	v_and_b32_e32 v16, 0xfffffc00, v4
	v_lshlrev_b32_e32 v2, 4, v8
	v_sub_u32_e32 v18, v3, v16
	v_lshl_add_u32 v2, v5, 10, v2
	v_ashrrev_i32_e32 v6, 10, v4
	v_cmp_lt_i32_e64 s[28:29], 15, v18
	v_sub_u32_e32 v19, v3, v2
	v_addc_co_u32_e64 v3, vcc, 0, v6, s[28:29]
	v_sub_u32_e32 v17, v3, v5
	v_cmp_lt_i32_e32 vcc, 15, v19
	s_and_saveexec_b64 s[92:93], vcc
	s_cbranch_execz .LBB10_168
; %bb.163:                              ;   in Loop: Header=BB10_78 Depth=2
	v_add_u32_e32 v2, v2, v0
	v_ashrrev_i32_e32 v3, 31, v2
	v_add_co_u32_e32 v46, vcc, v2, v40
	v_addc_co_u32_e32 v47, vcc, v3, v41, vcc
	v_add_co_u32_e32 v20, vcc, v2, v42
	v_addc_co_u32_e32 v21, vcc, v3, v43, vcc
	;; [unrolled: 2-line block ×3, first 2 shown]
	s_mov_b64 s[94:95], 0
.LBB10_164:                             ;   Parent Loop BB10_73 Depth=1
                                        ;     Parent Loop BB10_78 Depth=2
                                        ; =>    This Loop Header: Depth=3
                                        ;         Child Loop BB10_165 Depth 4
	global_load_dwordx4 v[2:5], v[46:47], off glc slc
	s_mov_b64 s[30:31], -1
	s_mov_b64 s[34:35], 0
	s_waitcnt vmcnt(0)
.LBB10_165:                             ;   Parent Loop BB10_73 Depth=1
                                        ;     Parent Loop BB10_78 Depth=2
                                        ;       Parent Loop BB10_164 Depth=3
                                        ; =>      This Inner Loop Header: Depth=4
	s_cmp_eq_u32 s34, 1
	s_cselect_b64 s[40:41], -1, 0
	v_cndmask_b32_e64 v7, v21, v29, s[40:41]
	v_cndmask_b32_e64 v6, v20, v28, s[40:41]
	global_store_dwordx4 v[6:7], v[2:5], off glc slc
	v_add_co_u32_e32 v6, vcc, 0x400, v6
	s_cmp_eq_u32 s34, 0
	v_addc_co_u32_e32 v7, vcc, 0, v7, vcc
	s_cselect_b64 vcc, -1, 0
	s_and_b64 s[42:43], exec, s[30:31]
	s_mov_b64 s[34:35], 1
	v_cndmask_b32_e64 v28, v28, v6, s[40:41]
	s_mov_b64 s[30:31], 0
	v_cndmask_b32_e64 v29, v29, v7, s[40:41]
	v_cndmask_b32_e32 v21, v21, v7, vcc
	v_cndmask_b32_e32 v20, v20, v6, vcc
	s_mov_b64 vcc, s[42:43]
	s_cbranch_vccnz .LBB10_165
; %bb.166:                              ;   in Loop: Header=BB10_164 Depth=3
	v_add_co_u32_e32 v20, vcc, v20, v37
	v_addc_co_u32_e32 v21, vcc, v21, v39, vcc
	v_add_co_u32_e32 v28, vcc, v28, v37
	v_addc_co_u32_e32 v29, vcc, v29, v39, vcc
	;; [unrolled: 2-line block ×3, first 2 shown]
	v_sub_u32_e32 v19, v19, v36
	v_cmp_gt_i32_e32 vcc, 16, v19
	s_or_b64 s[94:95], vcc, s[94:95]
	v_sub_u32_e32 v17, v17, v62
	s_andn2_b64 exec, exec, s[94:95]
	s_cbranch_execnz .LBB10_164
; %bb.167:                              ;   in Loop: Header=BB10_78 Depth=2
	s_or_b64 exec, exec, s[94:95]
	buffer_load_dword v26, off, s[0:3], s33 offset:72 ; 4-byte Folded Reload
	buffer_load_dword v27, off, s[0:3], s33 offset:76 ; 4-byte Folded Reload
	;; [unrolled: 1-line block ×4, first 2 shown]
.LBB10_168:                             ;   in Loop: Header=BB10_78 Depth=2
	s_or_b64 exec, exec, s[92:93]
	v_and_b32_e32 v3, 15, v34
	v_cndmask_b32_e64 v46, v18, v3, s[28:29]
	v_mov_b32_e32 v53, 0
	v_cmp_ne_u32_e32 vcc, 0, v46
	s_mov_b64 s[42:43], 0
                                        ; implicit-def: $vgpr47
                                        ; implicit-def: $vgpr2
	s_and_saveexec_b64 s[40:41], vcc
	s_cbranch_execz .LBB10_170
; %bb.169:                              ;   in Loop: Header=BB10_78 Depth=2
	v_sub_u32_e32 v2, v18, v3
	v_cndmask_b32_e64 v2, 0, v2, s[28:29]
	v_cmp_lt_i32_e32 vcc, 0, v17
	v_add3_u32 v53, v16, v0, v2
	v_cndmask_b32_e32 v0, 0, v62, vcc
	v_sub_u32_e32 v0, v0, v17
	v_lshl_add_u32 v47, v0, 6, v8
	v_ashrrev_i32_e32 v0, 31, v47
	v_lshrrev_b32_e32 v0, 26, v0
	v_add_u32_e32 v0, v47, v0
	v_ashrrev_i32_e32 v2, 6, v0
	s_mov_b64 s[42:43], exec
.LBB10_170:                             ;   in Loop: Header=BB10_78 Depth=2
	s_or_b64 exec, exec, s[40:41]
	buffer_load_dword v18, off, s[0:3], s33 offset:68 ; 4-byte Folded Reload
	s_and_b64 s[28:29], s[42:43], exec
.LBB10_171:                             ;   in Loop: Header=BB10_78 Depth=2
	s_or_b64 exec, exec, s[90:91]
	s_and_saveexec_b64 s[42:43], s[28:29]
	s_cbranch_execz .LBB10_182
.LBB10_172:                             ;   in Loop: Header=BB10_78 Depth=2
	v_ashrrev_i32_e32 v0, 31, v46
	v_lshrrev_b32_e32 v0, 22, v0
	v_add_u32_e32 v0, v46, v0
	v_ashrrev_i32_e32 v21, 10, v0
	v_sub_u32_e32 v57, v21, v2
	v_ashrrev_i32_e32 v0, 31, v47
	v_cmp_lt_i32_e32 vcc, 0, v57
	s_waitcnt vmcnt(0)
	v_lshrrev_b32_e32 v28, 26, v0
	s_and_saveexec_b64 s[28:29], vcc
	s_cbranch_execz .LBB10_176
; %bb.173:                              ;   in Loop: Header=BB10_78 Depth=2
	v_add_u32_e32 v0, v47, v28
	v_and_b32_e32 v0, 0xffffffc0, v0
	v_sub_u32_e32 v0, v47, v0
	v_lshlrev_b32_e32 v2, 10, v2
	v_add3_u32 v0, v53, v0, v2
	v_ashrrev_i32_e32 v6, 31, v0
	v_add_co_u32_e32 v2, vcc, v0, v42
	v_addc_co_u32_e32 v3, vcc, v6, v43, vcc
	v_add_co_u32_e32 v4, vcc, v0, v44
	v_addc_co_u32_e32 v5, vcc, v6, v45, vcc
	;; [unrolled: 2-line block ×4, first 2 shown]
	s_mov_b64 s[40:41], 0
.LBB10_174:                             ;   Parent Loop BB10_73 Depth=1
                                        ;     Parent Loop BB10_78 Depth=2
                                        ; =>    This Inner Loop Header: Depth=3
	v_add_co_u32_e32 v6, vcc, 0xfffffc40, v44
	v_addc_co_u32_e32 v7, vcc, -1, v45, vcc
	flat_load_ubyte v30, v[6:7] glc slc
	v_add_co_u32_e32 v6, vcc, 0xfffffc80, v44
	v_addc_co_u32_e32 v7, vcc, -1, v45, vcc
	flat_load_ubyte v50, v[6:7] glc slc
	;; [unrolled: 3-line block ×15, first 2 shown]
	s_nop 0
	flat_load_ubyte v6, v[44:45] glc slc
	v_sub_u32_e32 v57, v57, v62
	s_waitcnt vmcnt(0) lgkmcnt(0)
	flat_store_byte v[2:3], v30 glc slc
	flat_store_byte v[2:3], v50 offset:64 glc slc
	flat_store_byte v[2:3], v51 offset:128 glc slc
	;; [unrolled: 1-line block ×15, first 2 shown]
	flat_store_byte v[4:5], v30 glc slc
	flat_store_byte v[4:5], v50 offset:64 glc slc
	flat_store_byte v[4:5], v51 offset:128 glc slc
	;; [unrolled: 1-line block ×15, first 2 shown]
	v_add_co_u32_e32 v2, vcc, v2, v36
	v_addc_co_u32_e32 v3, vcc, 0, v3, vcc
	v_add_co_u32_e32 v4, vcc, v4, v36
	v_addc_co_u32_e32 v5, vcc, 0, v5, vcc
	;; [unrolled: 2-line block ×3, first 2 shown]
	v_cmp_gt_i32_e32 vcc, 1, v57
	s_or_b64 s[40:41], vcc, s[40:41]
	s_andn2_b64 exec, exec, s[40:41]
	s_cbranch_execnz .LBB10_174
; %bb.175:                              ;   in Loop: Header=BB10_78 Depth=2
	s_or_b64 exec, exec, s[40:41]
	buffer_load_dword v61, off, s[0:3], s33 offset:120 ; 4-byte Folded Reload
	buffer_load_dword v50, off, s[0:3], s33 offset:92 ; 4-byte Folded Reload
	;; [unrolled: 1-line block ×7, first 2 shown]
	v_add_u32_e32 v37, 0xfffffc00, v36
.LBB10_176:                             ;   in Loop: Header=BB10_78 Depth=2
	s_or_b64 exec, exec, s[28:29]
	v_lshlrev_b32_e32 v0, 10, v21
	v_cmp_ne_u32_e32 vcc, v46, v0
	s_and_b64 exec, exec, vcc
	s_cbranch_execz .LBB10_182
; %bb.177:                              ;   in Loop: Header=BB10_78 Depth=2
	v_add_u32_e32 v2, v47, v28
	v_and_b32_e32 v2, 0xffffffc0, v2
	v_sub_u32_e32 v2, v47, v2
	v_lshlrev_b32_e32 v3, 6, v57
	v_sub_u32_e32 v2, v2, v3
	v_add_u32_e32 v2, v0, v2
	v_sub_u32_e32 v0, v46, v2
	v_cmp_lt_i32_e32 vcc, 0, v0
	s_and_b64 exec, exec, vcc
	s_cbranch_execz .LBB10_182
; %bb.178:                              ;   in Loop: Header=BB10_78 Depth=2
	v_add_u32_e32 v8, v2, v53
	s_trap 2
	ds_read_b64 v[2:3], v0
	ds_read_b128 v[4:7], v0
	v_ashrrev_i32_e32 v16, 31, v8
	s_mov_b64 s[90:91], 0
	s_waitcnt lgkmcnt(0)
	v_add_co_u32_e32 v2, vcc, v2, v8
	v_addc_co_u32_e32 v3, vcc, v3, v16, vcc
	v_add_co_u32_e32 v4, vcc, v4, v8
	v_addc_co_u32_e32 v5, vcc, v5, v16, vcc
	;; [unrolled: 2-line block ×3, first 2 shown]
.LBB10_179:                             ;   Parent Loop BB10_73 Depth=1
                                        ;     Parent Loop BB10_78 Depth=2
                                        ; =>    This Loop Header: Depth=3
                                        ;         Child Loop BB10_180 Depth 4
	flat_load_ubyte v17, v[2:3] glc slc
	s_mov_b64 s[92:93], -1
	s_mov_b64 s[94:95], 0
	s_waitcnt vmcnt(0)
.LBB10_180:                             ;   Parent Loop BB10_73 Depth=1
                                        ;     Parent Loop BB10_78 Depth=2
                                        ;       Parent Loop BB10_179 Depth=3
                                        ; =>      This Inner Loop Header: Depth=4
	s_cmp_eq_u32 s94, 1
	s_cselect_b64 vcc, -1, 0
	v_cndmask_b32_e32 v7, v5, v16, vcc
	v_cndmask_b32_e32 v6, v4, v8, vcc
	s_waitcnt lgkmcnt(0)
	flat_store_byte v[6:7], v17 glc slc
	v_add_co_u32_e64 v6, s[28:29], 64, v6
	s_cmp_eq_u32 s94, 0
	v_addc_co_u32_e64 v7, s[28:29], 0, v7, s[28:29]
	s_cselect_b64 s[28:29], -1, 0
	s_and_b64 s[40:41], exec, s[92:93]
	s_mov_b64 s[94:95], 1
	s_mov_b64 s[92:93], 0
	v_cndmask_b32_e32 v16, v16, v7, vcc
	v_cndmask_b32_e32 v8, v8, v6, vcc
	v_cndmask_b32_e64 v5, v5, v7, s[28:29]
	v_cndmask_b32_e64 v4, v4, v6, s[28:29]
	s_mov_b64 vcc, s[40:41]
	s_cbranch_vccnz .LBB10_180
; %bb.181:                              ;   in Loop: Header=BB10_179 Depth=3
	buffer_load_dword v6, off, s[0:3], s33 offset:60 ; 4-byte Folded Reload
	buffer_load_dword v7, off, s[0:3], s33 offset:64 ; 4-byte Folded Reload
	v_sub_u32_e32 v0, v0, v18
	s_waitcnt vmcnt(0)
	v_add_co_u32_e32 v4, vcc, v4, v6
	v_addc_co_u32_e32 v5, vcc, v5, v7, vcc
	v_add_co_u32_e32 v8, vcc, v8, v6
	v_addc_co_u32_e32 v16, vcc, v16, v7, vcc
	v_cmp_gt_i32_e32 vcc, 1, v0
	s_or_b64 s[90:91], vcc, s[90:91]
	v_add_co_u32_e32 v2, vcc, v9, v2
	v_addc_co_u32_e32 v3, vcc, v10, v3, vcc
	s_andn2_b64 exec, exec, s[90:91]
	s_cbranch_execnz .LBB10_179
.LBB10_182:                             ;   in Loop: Header=BB10_78 Depth=2
	s_or_b64 exec, exec, s[42:43]
	v_mov_b32_e32 v46, 1
	v_mov_b32_e32 v47, 0xd0
	;; [unrolled: 1-line block ×3, first 2 shown]
	s_branch .LBB10_156
.LBB10_183:                             ;   in Loop: Header=BB10_78 Depth=2
	s_mov_b64 s[28:29], -1
	s_and_saveexec_b64 s[40:41], s[14:15]
	s_cbranch_execz .LBB10_185
; %bb.184:                              ;   in Loop: Header=BB10_78 Depth=2
	ds_read_b32 v0, v0 offset:720
	s_waitcnt lgkmcnt(0)
	v_and_b32_e32 v0, 15, v0
	v_cmp_eq_u32_e32 vcc, 0, v0
	s_orn2_b64 s[28:29], vcc, exec
.LBB10_185:                             ;   in Loop: Header=BB10_78 Depth=2
	s_or_b64 exec, exec, s[40:41]
	s_and_saveexec_b64 s[40:41], s[14:15]
	s_cbranch_execz .LBB10_187
; %bb.186:                              ;   in Loop: Header=BB10_78 Depth=2
	ds_read_b32 v0, v0 offset:784
	s_waitcnt lgkmcnt(0)
	v_and_b32_e32 v0, 15, v0
	v_cmp_eq_u32_e32 vcc, 0, v0
	s_and_b64 s[42:43], s[28:29], vcc
	s_andn2_b64 s[28:29], s[28:29], exec
	s_and_b64 s[42:43], s[42:43], exec
	s_or_b64 s[28:29], s[28:29], s[42:43]
.LBB10_187:                             ;   in Loop: Header=BB10_78 Depth=2
	s_or_b64 exec, exec, s[40:41]
	s_xor_b64 s[28:29], s[28:29], -1
	v_cndmask_b32_e64 v0, 0, 1, s[28:29]
	s_mov_b64 s[42:43], -1
	v_mov_b32_e32 v2, 0
	v_cmp_ne_u32_e32 vcc, 0, v0
	v_mov_b32_e32 v0, v34
	v_mov_b32_e32 v3, v59
	s_waitcnt vmcnt(0)
	v_mov_b32_e32 v8, v60
	s_cbranch_vccz .LBB10_189
; %bb.188:                              ;   in Loop: Header=BB10_78 Depth=2
	s_and_saveexec_b64 s[28:29], s[42:43]
	s_cbranch_execnz .LBB10_202
	s_branch .LBB10_210
.LBB10_189:                             ;   in Loop: Header=BB10_78 Depth=2
	v_ashrrev_i32_e32 v0, 31, v34
	v_lshrrev_b32_e32 v0, 20, v0
	v_add_u32_e32 v0, v34, v0
	v_ashrrev_i32_e32 v0, 12, v0
	v_sub_u32_e32 v16, v0, v60
	v_cmp_lt_i32_e32 vcc, 0, v16
	s_and_saveexec_b64 s[28:29], vcc
	s_cbranch_execz .LBB10_193
; %bb.190:                              ;   in Loop: Header=BB10_78 Depth=2
	v_mov_b32_e32 v2, v42
	v_mov_b32_e32 v4, v40
	s_mov_b64 s[40:41], 0
	v_mov_b32_e32 v3, v43
	v_mov_b32_e32 v5, v41
	v_ashrrev_i32_e32 v8, 31, v11
	v_lshlrev_b32_e32 v21, 12, v62
.LBB10_191:                             ;   Parent Loop BB10_73 Depth=1
                                        ;     Parent Loop BB10_78 Depth=2
                                        ; =>    This Inner Loop Header: Depth=3
	v_add_co_u32_e32 v6, vcc, v11, v4
	v_addc_co_u32_e32 v7, vcc, v8, v5, vcc
	global_load_dwordx4 v[17:20], v[6:7], off glc slc
	global_load_dwordx4 v[26:29], v[6:7], off offset:1024 glc slc
	global_load_dwordx4 v[44:47], v[6:7], off offset:2048 glc slc
	;; [unrolled: 1-line block ×3, first 2 shown]
	v_add_co_u32_e32 v6, vcc, v11, v2
	v_addc_co_u32_e32 v7, vcc, v8, v3, vcc
	v_add_co_u32_e32 v4, vcc, v4, v21
	v_addc_co_u32_e32 v5, vcc, 0, v5, vcc
	v_add_co_u32_e32 v2, vcc, v2, v21
	v_sub_u32_e32 v16, v16, v62
	v_addc_co_u32_e32 v3, vcc, 0, v3, vcc
	v_cmp_gt_i32_e32 vcc, 1, v16
	s_or_b64 s[40:41], vcc, s[40:41]
	s_waitcnt vmcnt(0)
	global_store_dwordx4 v[6:7], v[17:20], off glc slc
	global_store_dwordx4 v[6:7], v[26:29], off offset:1024 glc slc
	global_store_dwordx4 v[6:7], v[44:47], off offset:2048 glc slc
	;; [unrolled: 1-line block ×3, first 2 shown]
	s_andn2_b64 exec, exec, s[40:41]
	s_cbranch_execnz .LBB10_191
; %bb.192:                              ;   in Loop: Header=BB10_78 Depth=2
	s_or_b64 exec, exec, s[40:41]
	buffer_load_dword v59, off, s[0:3], s33 offset:136 ; 4-byte Folded Reload
	buffer_load_dword v26, off, s[0:3], s33 offset:72 ; 4-byte Folded Reload
	;; [unrolled: 1-line block ×8, first 2 shown]
	v_mov_b32_e32 v46, 1
	v_mov_b32_e32 v47, 0xd0
	;; [unrolled: 1-line block ×3, first 2 shown]
.LBB10_193:                             ;   in Loop: Header=BB10_78 Depth=2
	s_or_b64 exec, exec, s[28:29]
	v_lshlrev_b32_e32 v4, 12, v0
	v_cmp_ne_u32_e32 vcc, v34, v4
	s_mov_b64 s[42:43], 0
	v_mov_b32_e32 v2, 0
                                        ; implicit-def: $vgpr0
                                        ; implicit-def: $vgpr3
                                        ; implicit-def: $vgpr8
	s_and_saveexec_b64 s[40:41], vcc
	s_cbranch_execz .LBB10_201
; %bb.194:                              ;   in Loop: Header=BB10_78 Depth=2
	buffer_load_dword v2, off, s[0:3], s33 offset:108 ; 4-byte Folded Reload
	v_lshlrev_b32_e32 v0, 6, v16
	v_sub_u32_e32 v3, v34, v4
	v_ashrrev_i32_e32 v7, 31, v3
	v_lshrrev_b32_e32 v7, 22, v7
	v_add_u32_e32 v7, v3, v7
	v_and_b32_e32 v16, 0xfffffc00, v7
	s_waitcnt vmcnt(0)
	v_sub_u32_e32 v18, v3, v16
	v_ashrrev_i32_e32 v8, 10, v7
	v_cmp_lt_i32_e32 vcc, 15, v18
	v_sub_u32_e32 v0, v2, v0
	v_ashrrev_i32_e32 v2, 31, v0
	v_lshrrev_b32_e32 v2, 26, v2
	v_add_u32_e32 v2, v0, v2
	v_ashrrev_i32_e32 v6, 6, v2
	v_and_b32_e32 v2, 0xffffffc0, v2
	v_sub_u32_e32 v5, v0, v2
	v_lshlrev_b32_e32 v0, 4, v5
	v_lshl_add_u32 v2, v6, 10, v0
	v_sub_u32_e32 v0, v3, v2
	v_addc_co_u32_e64 v3, s[28:29], 0, v8, vcc
	v_sub_u32_e32 v17, v3, v6
	v_cmp_lt_i32_e64 s[28:29], 15, v0
	s_and_saveexec_b64 s[42:43], s[28:29]
	s_cbranch_execz .LBB10_198
; %bb.195:                              ;   in Loop: Header=BB10_78 Depth=2
	v_add_u32_e32 v2, v2, v4
	v_ashrrev_i32_e32 v3, 31, v2
	s_mov_b64 s[90:91], 0
.LBB10_196:                             ;   Parent Loop BB10_73 Depth=1
                                        ;     Parent Loop BB10_78 Depth=2
                                        ; =>    This Inner Loop Header: Depth=3
	v_add_co_u32_e64 v6, s[28:29], v40, v2
	v_addc_co_u32_e64 v7, s[28:29], v41, v3, s[28:29]
	global_load_dwordx4 v[26:29], v[6:7], off glc slc
	v_add_co_u32_e64 v6, s[28:29], v42, v2
	v_addc_co_u32_e64 v7, s[28:29], v43, v3, s[28:29]
	v_add_co_u32_e64 v2, s[28:29], v2, v31
	v_sub_u32_e32 v0, v0, v36
	v_addc_co_u32_e64 v3, s[28:29], v3, v1, s[28:29]
	v_cmp_gt_i32_e64 s[28:29], 16, v0
	v_sub_u32_e32 v17, v17, v62
	s_or_b64 s[90:91], s[28:29], s[90:91]
	s_waitcnt vmcnt(0)
	global_store_dwordx4 v[6:7], v[26:29], off glc slc
	s_andn2_b64 exec, exec, s[90:91]
	s_cbranch_execnz .LBB10_196
; %bb.197:                              ;   in Loop: Header=BB10_78 Depth=2
	s_or_b64 exec, exec, s[90:91]
	buffer_load_dword v26, off, s[0:3], s33 offset:72 ; 4-byte Folded Reload
	buffer_load_dword v27, off, s[0:3], s33 offset:76 ; 4-byte Folded Reload
	;; [unrolled: 1-line block ×4, first 2 shown]
.LBB10_198:                             ;   in Loop: Header=BB10_78 Depth=2
	s_or_b64 exec, exec, s[42:43]
	v_and_b32_e32 v19, 15, v34
	v_cndmask_b32_e32 v0, v18, v19, vcc
	v_mov_b32_e32 v2, 0
	v_cmp_ne_u32_e64 s[28:29], 0, v0
	s_mov_b64 s[90:91], 0
                                        ; implicit-def: $vgpr3
                                        ; implicit-def: $vgpr8
	s_and_saveexec_b64 s[42:43], s[28:29]
	s_cbranch_execz .LBB10_200
; %bb.199:                              ;   in Loop: Header=BB10_78 Depth=2
	v_sub_u32_e32 v2, v18, v19
	v_cndmask_b32_e32 v2, 0, v2, vcc
	v_cmp_lt_i32_e32 vcc, 0, v17
	v_cndmask_b32_e32 v3, 0, v62, vcc
	v_sub_u32_e32 v3, v3, v17
	v_lshl_add_u32 v3, v3, 6, v5
	v_add3_u32 v2, v16, v4, v2
	v_ashrrev_i32_e32 v4, 31, v3
	v_lshrrev_b32_e32 v4, 26, v4
	v_add_u32_e32 v4, v3, v4
	v_ashrrev_i32_e32 v8, 6, v4
	s_mov_b64 s[90:91], exec
.LBB10_200:                             ;   in Loop: Header=BB10_78 Depth=2
	s_or_b64 exec, exec, s[42:43]
	buffer_load_dword v18, off, s[0:3], s33 offset:68 ; 4-byte Folded Reload
	s_and_b64 s[42:43], s[90:91], exec
.LBB10_201:                             ;   in Loop: Header=BB10_78 Depth=2
	s_or_b64 exec, exec, s[40:41]
	s_and_saveexec_b64 s[28:29], s[42:43]
	s_cbranch_execz .LBB10_210
.LBB10_202:                             ;   in Loop: Header=BB10_78 Depth=2
	v_ashrrev_i32_e32 v4, 31, v0
	v_lshrrev_b32_e32 v4, 22, v4
	v_add_u32_e32 v4, v0, v4
	v_ashrrev_i32_e32 v5, 10, v4
	v_sub_u32_e32 v4, v5, v8
	v_cmp_lt_i32_e32 vcc, 0, v4
	s_and_saveexec_b64 s[40:41], vcc
	s_cbranch_execz .LBB10_206
; %bb.203:                              ;   in Loop: Header=BB10_78 Depth=2
	v_ashrrev_i32_e32 v6, 31, v3
	v_lshrrev_b32_e32 v6, 26, v6
	v_add_u32_e32 v6, v3, v6
	v_and_b32_e32 v6, 0xffffffc0, v6
	v_sub_u32_e32 v6, v3, v6
	v_lshlrev_b32_e32 v7, 10, v8
	v_add3_u32 v8, v2, v6, v7
	v_ashrrev_i32_e32 v16, 31, v8
	s_mov_b64 s[42:43], 0
.LBB10_204:                             ;   Parent Loop BB10_73 Depth=1
                                        ;     Parent Loop BB10_78 Depth=2
                                        ; =>    This Inner Loop Header: Depth=3
	v_add_co_u32_e32 v6, vcc, v8, v40
	v_addc_co_u32_e32 v7, vcc, v16, v41, vcc
	flat_load_ubyte v17, v[6:7] glc slc
	s_waitcnt vmcnt(0)
	flat_load_ubyte v18, v[6:7] offset:64 glc slc
	flat_load_ubyte v19, v[6:7] offset:128 glc slc
	;; [unrolled: 1-line block ×15, first 2 shown]
	v_add_co_u32_e32 v6, vcc, v8, v42
	v_addc_co_u32_e32 v7, vcc, v16, v43, vcc
	v_add_co_u32_e32 v40, vcc, v40, v31
	v_addc_co_u32_e32 v41, vcc, v41, v1, vcc
	v_add_co_u32_e32 v42, vcc, v42, v31
	v_sub_u32_e32 v4, v4, v62
	v_addc_co_u32_e32 v43, vcc, v43, v1, vcc
	v_cmp_gt_i32_e32 vcc, 1, v4
	s_or_b64 s[42:43], vcc, s[42:43]
	s_waitcnt lgkmcnt(0)
	flat_store_byte v[6:7], v17 glc slc
	s_waitcnt vmcnt(0)
	flat_store_byte v[6:7], v18 offset:64 glc slc
	flat_store_byte v[6:7], v19 offset:128 glc slc
	;; [unrolled: 1-line block ×15, first 2 shown]
	s_andn2_b64 exec, exec, s[42:43]
	s_cbranch_execnz .LBB10_204
; %bb.205:                              ;   in Loop: Header=BB10_78 Depth=2
	s_or_b64 exec, exec, s[42:43]
	buffer_load_dword v26, off, s[0:3], s33 offset:72 ; 4-byte Folded Reload
	buffer_load_dword v27, off, s[0:3], s33 offset:76 ; 4-byte Folded Reload
	;; [unrolled: 1-line block ×8, first 2 shown]
	v_add_u32_e32 v37, 0xfffffc00, v36
.LBB10_206:                             ;   in Loop: Header=BB10_78 Depth=2
	s_or_b64 exec, exec, s[40:41]
	v_lshlrev_b32_e32 v5, 10, v5
	v_cmp_ne_u32_e32 vcc, v0, v5
	s_and_b64 exec, exec, vcc
	s_cbranch_execz .LBB10_210
; %bb.207:                              ;   in Loop: Header=BB10_78 Depth=2
	v_ashrrev_i32_e32 v6, 31, v3
	v_lshrrev_b32_e32 v6, 26, v6
	v_add_u32_e32 v6, v3, v6
	v_and_b32_e32 v6, 0xffffffc0, v6
	v_sub_u32_e32 v3, v3, v6
	v_lshlrev_b32_e32 v4, 6, v4
	v_sub_u32_e32 v3, v3, v4
	v_add_u32_e32 v3, v5, v3
	v_sub_u32_e32 v0, v0, v3
	v_cmp_lt_i32_e32 vcc, 0, v0
	s_and_b64 exec, exec, vcc
	s_cbranch_execz .LBB10_210
; %bb.208:                              ;   in Loop: Header=BB10_78 Depth=2
	v_add_u32_e32 v4, v3, v2
	s_trap 2
	ds_read_b64 v[2:3], v0
	v_ashrrev_i32_e32 v5, 31, v4
	s_mov_b64 s[40:41], 0
.LBB10_209:                             ;   Parent Loop BB10_73 Depth=1
                                        ;     Parent Loop BB10_78 Depth=2
                                        ; =>    This Inner Loop Header: Depth=3
	s_waitcnt lgkmcnt(0)
	v_add_co_u32_e32 v6, vcc, v2, v4
	v_addc_co_u32_e32 v7, vcc, v3, v5, vcc
	flat_load_ubyte v8, v[6:7] glc slc
	v_add_co_u32_e32 v4, vcc, v4, v9
	s_waitcnt vmcnt(0)
	v_sub_u32_e32 v0, v0, v18
	v_addc_co_u32_e32 v5, vcc, v5, v10, vcc
	v_cmp_gt_i32_e32 vcc, 1, v0
	s_or_b64 s[40:41], vcc, s[40:41]
	s_waitcnt lgkmcnt(0)
	flat_store_byte v[6:7], v8 glc slc
	s_andn2_b64 exec, exec, s[40:41]
	s_cbranch_execnz .LBB10_209
.LBB10_210:                             ;   in Loop: Header=BB10_78 Depth=2
	s_or_b64 exec, exec, s[28:29]
	v_cmp_lt_i32_e64 s[28:29], 0, v34
	s_and_saveexec_b64 s[40:41], s[12:13]
	s_cbranch_execz .LBB10_150
.LBB10_211:                             ;   in Loop: Header=BB10_78 Depth=2
	s_and_saveexec_b64 s[42:43], s[58:59]
	s_xor_b64 s[42:43], exec, s[42:43]
	s_cbranch_execz .LBB10_226
; %bb.212:                              ;   in Loop: Header=BB10_78 Depth=2
	s_and_saveexec_b64 s[90:91], s[6:7]
	s_cbranch_execz .LBB10_225
; %bb.213:                              ;   in Loop: Header=BB10_78 Depth=2
	s_mov_b64 s[94:95], exec
	v_mbcnt_lo_u32_b32 v0, s94, 0
	v_mbcnt_hi_u32_b32 v0, s95, v0
	v_cmp_eq_u32_e32 vcc, 0, v0
	s_waitcnt vmcnt(0) lgkmcnt(0)
	buffer_wbinvl1_vol
	s_and_saveexec_b64 s[92:93], vcc
	s_cbranch_execz .LBB10_215
; %bb.214:                              ;   in Loop: Header=BB10_78 Depth=2
	s_bcnt1_i32_b64 s94, s[94:95]
	v_mov_b32_e32 v34, s94
	ds_add_u64 v0, v[34:35]
	s_trap 2
.LBB10_215:                             ;   in Loop: Header=BB10_78 Depth=2
	s_or_b64 exec, exec, s[92:93]
	s_trap 2
	ds_read_b64 v[2:3], v0
	s_waitcnt lgkmcnt(0)
	v_add_co_u32_e32 v14, vcc, v14, v62
	v_addc_co_u32_e32 v15, vcc, 0, v15, vcc
	v_cmp_lt_u64_e32 vcc, v[2:3], v[14:15]
	s_and_saveexec_b64 s[92:93], vcc
	s_cbranch_execz .LBB10_224
; %bb.216:                              ;   in Loop: Header=BB10_78 Depth=2
	s_mov_b32 s48, 0
	s_mov_b64 s[94:95], 0
                                        ; implicit-def: $sgpr30_sgpr31
                                        ; implicit-def: $sgpr34_sgpr35
	s_branch .LBB10_218
.LBB10_217:                             ;   in Loop: Header=BB10_218 Depth=3
	s_or_b64 exec, exec, s[38:39]
	s_and_b64 vcc, exec, vcc
	s_or_b64 s[94:95], vcc, s[94:95]
	s_andn2_b64 vcc, s[30:31], exec
	s_and_b64 s[30:31], s[34:35], exec
	s_or_b64 s[30:31], vcc, s[30:31]
	s_andn2_b64 exec, exec, s[94:95]
	s_cbranch_execz .LBB10_222
.LBB10_218:                             ;   Parent Loop BB10_73 Depth=1
                                        ;     Parent Loop BB10_78 Depth=2
                                        ; =>    This Inner Loop Header: Depth=3
	s_add_i32 s48, s48, 1
	s_cmpk_lg_i32 s48, 0x2710
	s_cselect_b64 s[36:37], -1, 0
	s_and_b64 vcc, exec, s[36:37]
	s_cbranch_vccz .LBB10_220
; %bb.219:                              ;   in Loop: Header=BB10_218 Depth=3
	s_mov_b64 vcc, -1
	s_or_b64 s[34:35], s[34:35], exec
	s_and_saveexec_b64 s[38:39], s[36:37]
	s_cbranch_execz .LBB10_217
	s_branch .LBB10_221
.LBB10_220:                             ;   in Loop: Header=BB10_218 Depth=3
	s_trap 2
	ds_read_b64 v[2:3], v0
	s_andn2_b64 s[36:37], s[36:37], exec
	s_mov_b32 s48, 0
	s_waitcnt lgkmcnt(0)
	flat_load_dword v0, v[2:3] glc
	s_waitcnt vmcnt(0) lgkmcnt(0)
	buffer_wbinvl1_vol
	v_cmp_eq_u32_e32 vcc, 0, v0
	s_and_b64 vcc, vcc, exec
	s_or_b64 s[36:37], s[36:37], vcc
	s_mov_b64 vcc, -1
	s_or_b64 s[34:35], s[34:35], exec
	s_and_saveexec_b64 s[38:39], s[36:37]
	s_cbranch_execz .LBB10_217
.LBB10_221:                             ;   in Loop: Header=BB10_218 Depth=3
	s_sleep 1
	s_trap 2
	ds_read_b64 v[2:3], v0
	s_waitcnt lgkmcnt(0)
	s_andn2_b64 s[34:35], s[34:35], exec
	v_cmp_ge_u64_e32 vcc, v[2:3], v[14:15]
	s_orn2_b64 vcc, vcc, exec
	s_branch .LBB10_217
.LBB10_222:                             ;   in Loop: Header=BB10_78 Depth=2
	s_or_b64 exec, exec, s[94:95]
	s_and_saveexec_b64 s[94:95], s[30:31]
	s_xor_b64 s[94:95], exec, s[94:95]
	s_cbranch_execz .LBB10_224
; %bb.223:                              ;   in Loop: Header=BB10_78 Depth=2
	ds_write_b32 v0, v46
	s_trap 2
.LBB10_224:                             ;   in Loop: Header=BB10_78 Depth=2
	s_or_b64 exec, exec, s[92:93]
	;;#ASMSTART
	s_wakeup
	;;#ASMEND
.LBB10_225:                             ;   in Loop: Header=BB10_78 Depth=2
	s_or_b64 exec, exec, s[90:91]
.LBB10_226:                             ;   in Loop: Header=BB10_78 Depth=2
	s_andn2_saveexec_b64 s[42:43], s[42:43]
	s_cbranch_execz .LBB10_228
; %bb.227:                              ;   in Loop: Header=BB10_78 Depth=2
	s_waitcnt vmcnt(0) lgkmcnt(0)
	buffer_wbinvl1_vol
	s_barrier
.LBB10_228:                             ;   in Loop: Header=BB10_78 Depth=2
	s_or_b64 exec, exec, s[42:43]
	s_or_b64 exec, exec, s[40:41]
                                        ; implicit-def: $vgpr0
	s_and_saveexec_b64 s[40:41], s[18:19]
	s_xor_b64 s[40:41], exec, s[40:41]
	s_cbranch_execnz .LBB10_151
.LBB10_229:                             ;   in Loop: Header=BB10_78 Depth=2
	s_andn2_saveexec_b64 s[28:29], s[40:41]
	s_cbranch_execz .LBB10_154
.LBB10_230:                             ;   in Loop: Header=BB10_78 Depth=2
	s_and_saveexec_b64 s[40:41], s[58:59]
	s_xor_b64 s[40:41], exec, s[40:41]
	s_cbranch_execz .LBB10_245
; %bb.231:                              ;   in Loop: Header=BB10_78 Depth=2
	s_and_saveexec_b64 s[42:43], s[6:7]
	s_cbranch_execz .LBB10_244
; %bb.232:                              ;   in Loop: Header=BB10_78 Depth=2
	s_mov_b64 s[92:93], exec
	v_mbcnt_lo_u32_b32 v0, s92, 0
	v_mbcnt_hi_u32_b32 v0, s93, v0
	v_cmp_eq_u32_e32 vcc, 0, v0
	;;#ASMSTART
	s_waitcnt lgkmcnt(0) vmcnt(0)
	;;#ASMEND
	s_and_saveexec_b64 s[90:91], vcc
	s_cbranch_execz .LBB10_234
; %bb.233:                              ;   in Loop: Header=BB10_78 Depth=2
	s_bcnt1_i32_b64 s92, s[92:93]
	v_mov_b32_e32 v34, s92
	s_waitcnt lgkmcnt(0)
	ds_add_u64 v0, v[34:35]
	s_trap 2
.LBB10_234:                             ;   in Loop: Header=BB10_78 Depth=2
	s_or_b64 exec, exec, s[90:91]
	s_trap 2
	ds_read_b64 v[2:3], v0
	s_waitcnt lgkmcnt(0)
	v_add_co_u32_e32 v14, vcc, v14, v62
	v_addc_co_u32_e32 v15, vcc, 0, v15, vcc
	v_cmp_lt_u64_e32 vcc, v[2:3], v[14:15]
	s_and_saveexec_b64 s[90:91], vcc
	s_cbranch_execz .LBB10_243
; %bb.235:                              ;   in Loop: Header=BB10_78 Depth=2
	s_mov_b32 s38, 0
	s_mov_b64 s[92:93], 0
                                        ; implicit-def: $sgpr94_sgpr95
                                        ; implicit-def: $sgpr30_sgpr31
	s_branch .LBB10_237
.LBB10_236:                             ;   in Loop: Header=BB10_237 Depth=3
	s_or_b64 exec, exec, s[36:37]
	s_and_b64 vcc, exec, vcc
	s_or_b64 s[92:93], vcc, s[92:93]
	s_andn2_b64 s[94:95], s[94:95], exec
	s_and_b64 vcc, s[30:31], exec
	s_or_b64 s[94:95], s[94:95], vcc
	s_andn2_b64 exec, exec, s[92:93]
	s_cbranch_execz .LBB10_241
.LBB10_237:                             ;   Parent Loop BB10_73 Depth=1
                                        ;     Parent Loop BB10_78 Depth=2
                                        ; =>    This Inner Loop Header: Depth=3
	s_add_i32 s38, s38, 1
	s_cmpk_lg_i32 s38, 0x2710
	s_cselect_b64 s[34:35], -1, 0
	s_and_b64 vcc, exec, s[34:35]
	s_cbranch_vccz .LBB10_239
; %bb.238:                              ;   in Loop: Header=BB10_237 Depth=3
	s_mov_b64 vcc, -1
	s_or_b64 s[30:31], s[30:31], exec
	s_and_saveexec_b64 s[36:37], s[34:35]
	s_cbranch_execz .LBB10_236
	s_branch .LBB10_240
.LBB10_239:                             ;   in Loop: Header=BB10_237 Depth=3
	s_trap 2
	ds_read_b64 v[2:3], v0
	s_andn2_b64 s[34:35], s[34:35], exec
	s_mov_b32 s38, 0
	s_waitcnt vmcnt(0) lgkmcnt(0)
	flat_load_dword v0, v[2:3] glc
	s_waitcnt vmcnt(0) lgkmcnt(0)
	buffer_wbinvl1_vol
	v_cmp_eq_u32_e32 vcc, 0, v0
	s_and_b64 vcc, vcc, exec
	s_or_b64 s[34:35], s[34:35], vcc
	s_mov_b64 vcc, -1
	s_or_b64 s[30:31], s[30:31], exec
	s_and_saveexec_b64 s[36:37], s[34:35]
	s_cbranch_execz .LBB10_236
.LBB10_240:                             ;   in Loop: Header=BB10_237 Depth=3
	s_sleep 1
	s_trap 2
	ds_read_b64 v[2:3], v0
	s_waitcnt lgkmcnt(0)
	s_andn2_b64 s[30:31], s[30:31], exec
	v_cmp_ge_u64_e32 vcc, v[2:3], v[14:15]
	s_orn2_b64 vcc, vcc, exec
	s_branch .LBB10_236
.LBB10_241:                             ;   in Loop: Header=BB10_78 Depth=2
	s_or_b64 exec, exec, s[92:93]
	s_and_saveexec_b64 s[92:93], s[94:95]
	s_xor_b64 s[92:93], exec, s[92:93]
	s_cbranch_execz .LBB10_243
; %bb.242:                              ;   in Loop: Header=BB10_78 Depth=2
	ds_write_b32 v0, v46
	s_trap 2
.LBB10_243:                             ;   in Loop: Header=BB10_78 Depth=2
	s_or_b64 exec, exec, s[90:91]
	;;#ASMSTART
	s_wakeup
	;;#ASMEND
.LBB10_244:                             ;   in Loop: Header=BB10_78 Depth=2
	s_or_b64 exec, exec, s[42:43]
.LBB10_245:                             ;   in Loop: Header=BB10_78 Depth=2
	s_andn2_saveexec_b64 s[40:41], s[40:41]
	s_cbranch_execz .LBB10_247
; %bb.246:                              ;   in Loop: Header=BB10_78 Depth=2
	;;#ASMSTART
	s_waitcnt lgkmcnt(0) vmcnt(0)
	;;#ASMEND
	s_waitcnt vmcnt(0) lgkmcnt(0)
	s_barrier
.LBB10_247:                             ;   in Loop: Header=BB10_78 Depth=2
	s_or_b64 exec, exec, s[40:41]
	v_and_b32_e32 v0, 16, v56
	s_or_b64 exec, exec, s[28:29]
	v_cmp_ne_u32_e32 vcc, 0, v0
	s_and_saveexec_b64 s[28:29], vcc
	s_cbranch_execz .LBB10_77
.LBB10_248:                             ;   in Loop: Header=BB10_78 Depth=2
	s_and_saveexec_b64 s[40:41], s[22:23]
	s_cbranch_execz .LBB10_76
; %bb.249:                              ;   in Loop: Header=BB10_78 Depth=2
	s_waitcnt vmcnt(0)
	flat_store_dword v[50:51], v46
	s_branch .LBB10_76
.LBB10_250:                             ;   in Loop: Header=BB10_73 Depth=1
	s_or_b64 exec, exec, s[78:79]
.LBB10_251:                             ;   in Loop: Header=BB10_73 Depth=1
	s_or_b64 exec, exec, s[76:77]
	v_cmp_gt_i32_e32 vcc, 2, v0
	s_and_saveexec_b64 s[40:41], vcc
	s_cbranch_execz .LBB10_323
; %bb.252:                              ;   in Loop: Header=BB10_73 Depth=1
	v_cmp_eq_u32_e64 s[76:77], 0, v0
	s_mov_b64 s[42:43], 0
	s_branch .LBB10_255
.LBB10_253:                             ;   in Loop: Header=BB10_255 Depth=2
	s_or_b64 exec, exec, s[76:77]
	v_add_co_u32_e32 v48, vcc, 2, v48
	v_addc_co_u32_e32 v49, vcc, 0, v49, vcc
	flat_store_dwordx2 v[24:25], v[48:49]
.LBB10_254:                             ;   in Loop: Header=BB10_255 Depth=2
	s_or_b64 exec, exec, s[28:29]
	v_add_u32_e32 v22, v52, v22
	s_mov_b64 s[76:77], 0
	s_andn2_b64 exec, exec, s[42:43]
	s_cbranch_execz .LBB10_322
.LBB10_255:                             ;   Parent Loop BB10_73 Depth=1
                                        ; =>  This Loop Header: Depth=2
                                        ;       Child Loop BB10_261 Depth 3
                                        ;       Child Loop BB10_285 Depth 3
	;; [unrolled: 1-line block ×3, first 2 shown]
	v_sub_u32_e32 v0, v38, v22
	s_waitcnt vmcnt(0)
	v_min_i32_e32 v52, v52, v0
	v_and_b32_e32 v0, 8, v56
	v_cmp_ne_u32_e32 vcc, 0, v0
	s_and_saveexec_b64 s[78:79], vcc
	s_cbranch_execz .LBB10_277
; %bb.256:                              ;   in Loop: Header=BB10_255 Depth=2
	s_waitcnt lgkmcnt(0)
	v_add_co_u32_e32 v4, vcc, 8, v32
	v_addc_co_u32_e32 v5, vcc, 0, v33, vcc
	v_add_co_u32_e32 v2, vcc, 2, v48
	v_addc_co_u32_e32 v3, vcc, 0, v49, vcc
	v_cmp_lt_u64_e32 vcc, v[4:5], v[2:3]
	s_and_saveexec_b64 s[88:89], vcc
	s_cbranch_execz .LBB10_268
; %bb.257:                              ;   in Loop: Header=BB10_255 Depth=2
	v_and_b32_e32 v0, 64, v56
	s_mov_b32 s65, 0
	v_cmp_eq_u32_e32 vcc, 0, v0
	s_mov_b64 s[90:91], 0
                                        ; implicit-def: $sgpr92_sgpr93
                                        ; implicit-def: $sgpr94_sgpr95
                                        ; implicit-def: $sgpr30_sgpr31
	s_branch .LBB10_261
.LBB10_258:                             ;   in Loop: Header=BB10_261 Depth=3
	s_waitcnt vmcnt(0) lgkmcnt(0)
	v_add_co_u32_e64 v4, s[28:29], 8, v32
	v_addc_co_u32_e64 v5, s[28:29], 0, v33, s[28:29]
	v_cmp_ge_u64_e64 s[28:29], v[4:5], v[2:3]
	s_or_b64 s[38:39], s[38:39], exec
	s_orn2_b64 s[36:37], s[28:29], exec
.LBB10_259:                             ;   in Loop: Header=BB10_261 Depth=3
	s_or_b64 exec, exec, s[50:51]
	s_andn2_b64 s[28:29], s[30:31], exec
	s_and_b64 s[30:31], s[38:39], exec
	s_or_b64 s[30:31], s[28:29], s[30:31]
	s_andn2_b64 s[28:29], s[94:95], exec
	s_and_b64 s[94:95], s[36:37], exec
	s_or_b64 s[94:95], s[28:29], s[94:95]
.LBB10_260:                             ;   in Loop: Header=BB10_261 Depth=3
	s_or_b64 exec, exec, s[34:35]
	s_and_b64 s[28:29], exec, s[94:95]
	s_or_b64 s[90:91], s[28:29], s[90:91]
	s_andn2_b64 s[28:29], s[92:93], exec
	s_and_b64 s[92:93], s[30:31], exec
	s_or_b64 s[92:93], s[28:29], s[92:93]
	s_andn2_b64 exec, exec, s[90:91]
	s_cbranch_execz .LBB10_265
.LBB10_261:                             ;   Parent Loop BB10_73 Depth=1
                                        ;     Parent Loop BB10_255 Depth=2
                                        ; =>    This Inner Loop Header: Depth=3
	s_sleep 1
	s_waitcnt vmcnt(0) lgkmcnt(0)
	flat_load_dwordx2 v[32:33], v[24:25] glc
	s_or_b64 s[30:31], s[30:31], exec
	s_or_b64 s[94:95], s[94:95], exec
                                        ; implicit-def: $vgpr0
	s_and_saveexec_b64 s[34:35], vcc
	s_cbranch_execz .LBB10_260
; %bb.262:                              ;   in Loop: Header=BB10_261 Depth=3
	s_cmpk_lt_i32 s65, 0x270f
	s_cselect_b64 s[48:49], -1, 0
	s_cmpk_gt_i32 s65, 0x270e
	s_mov_b64 s[36:37], -1
	s_cbranch_scc0 .LBB10_264
; %bb.263:                              ;   in Loop: Header=BB10_261 Depth=3
	s_trap 2
	ds_read_b64 v[4:5], v0
	s_andn2_b64 s[48:49], s[48:49], exec
	s_mov_b32 s65, 0
	s_mov_b64 s[38:39], 0
	s_waitcnt vmcnt(0) lgkmcnt(0)
	flat_load_dword v0, v[4:5] glc
	s_waitcnt vmcnt(0) lgkmcnt(0)
	buffer_wbinvl1_vol
	v_cmp_eq_u32_e64 s[28:29], 0, v0
	s_and_b64 s[28:29], s[28:29], exec
	s_or_b64 s[48:49], s[48:49], s[28:29]
	s_and_saveexec_b64 s[50:51], s[48:49]
	s_cbranch_execz .LBB10_259
	s_branch .LBB10_258
.LBB10_264:                             ;   in Loop: Header=BB10_261 Depth=3
	s_add_i32 s65, s65, 1
	s_mov_b64 s[38:39], -1
                                        ; implicit-def: $vgpr0
	s_and_saveexec_b64 s[50:51], s[48:49]
	s_cbranch_execz .LBB10_259
	s_branch .LBB10_258
.LBB10_265:                             ;   in Loop: Header=BB10_255 Depth=2
	s_or_b64 exec, exec, s[90:91]
	s_xor_b64 s[28:29], s[92:93], -1
	s_and_saveexec_b64 s[90:91], s[28:29]
	s_xor_b64 s[28:29], exec, s[90:91]
	s_cbranch_execz .LBB10_267
; %bb.266:                              ;   in Loop: Header=BB10_255 Depth=2
	v_or_b32_e32 v56, 64, v56
	s_waitcnt lgkmcnt(0)
	ds_write_b32 v0, v0
	s_trap 2
.LBB10_267:                             ;   in Loop: Header=BB10_255 Depth=2
	s_or_b64 exec, exec, s[28:29]
.LBB10_268:                             ;   in Loop: Header=BB10_255 Depth=2
	s_or_b64 exec, exec, s[88:89]
	v_and_b32_e32 v0, 0x100, v56
	v_cmp_ne_u32_e32 vcc, 0, v0
	v_and_b32_e32 v0, 7, v48
	s_mov_b64 s[28:29], -1
	;;#ASMSTART
	s_wakeup
	;;#ASMEND
                                        ; implicit-def: $vgpr4_vgpr5
	s_and_saveexec_b64 s[88:89], vcc
	s_cbranch_execz .LBB10_272
; %bb.269:                              ;   in Loop: Header=BB10_255 Depth=2
	v_mad_u64_u32 v[48:49], s[28:29], v0, 24, v[26:27]
	v_ashrrev_i32_e32 v53, 31, v52
	flat_load_dword v4, v[48:49]
	s_nop 0
	flat_store_dwordx2 v[48:49], v[52:53] offset:8
	s_waitcnt vmcnt(0) lgkmcnt(0)
	v_cmp_ne_u32_e32 vcc, 1, v4
	v_cmp_eq_u32_e64 s[28:29], 1, v4
                                        ; implicit-def: $vgpr4_vgpr5
	s_and_saveexec_b64 s[90:91], s[28:29]
	s_cbranch_execz .LBB10_271
; %bb.270:                              ;   in Loop: Header=BB10_255 Depth=2
	flat_load_dword v4, v[48:49] offset:4 glc
	s_waitcnt vmcnt(0) lgkmcnt(0)
	v_ashrrev_i32_e32 v5, 31, v4
.LBB10_271:                             ;   in Loop: Header=BB10_255 Depth=2
	s_or_b64 exec, exec, s[90:91]
	s_orn2_b64 s[28:29], vcc, exec
.LBB10_272:                             ;   in Loop: Header=BB10_255 Depth=2
	s_or_b64 exec, exec, s[88:89]
	s_and_saveexec_b64 s[88:89], s[28:29]
; %bb.273:                              ;   in Loop: Header=BB10_255 Depth=2
	v_mad_i64_i32 v[4:5], s[28:29], v0, v61, 0
; %bb.274:                              ;   in Loop: Header=BB10_255 Depth=2
	s_or_b64 exec, exec, s[88:89]
	v_add_co_u32_e32 v4, vcc, v12, v4
	v_addc_co_u32_e32 v5, vcc, v13, v5, vcc
	ds_write_b64 v0, v[4:5] offset:792
	v_and_b32_e32 v0, 0x2000, v56
	v_cmp_ne_u32_e32 vcc, 0, v0
	s_and_saveexec_b64 s[28:29], vcc
	s_cbranch_execz .LBB10_276
; %bb.275:                              ;   in Loop: Header=BB10_255 Depth=2
	ds_read_b64 v[4:5], v0 offset:872
	s_waitcnt lgkmcnt(0)
	v_add_co_u32_e32 v4, vcc, 1, v4
	v_addc_co_u32_e32 v5, vcc, 0, v5, vcc
	ds_write_b64 v0, v[4:5] offset:872
.LBB10_276:                             ;   in Loop: Header=BB10_255 Depth=2
	s_or_b64 exec, exec, s[28:29]
	v_mov_b32_e32 v49, v3
	v_mov_b32_e32 v48, v2
.LBB10_277:                             ;   in Loop: Header=BB10_255 Depth=2
	s_or_b64 exec, exec, s[78:79]
	s_xor_b64 s[28:29], s[76:77], -1
	s_and_b64 s[28:29], exec, s[28:29]
	s_or_b64 s[42:43], s[28:29], s[42:43]
	s_and_saveexec_b64 s[28:29], s[12:13]
	s_cbranch_execz .LBB10_296
; %bb.278:                              ;   in Loop: Header=BB10_255 Depth=2
	s_and_saveexec_b64 s[76:77], s[58:59]
	s_xor_b64 s[76:77], exec, s[76:77]
	s_cbranch_execz .LBB10_293
; %bb.279:                              ;   in Loop: Header=BB10_255 Depth=2
	s_and_saveexec_b64 s[78:79], s[6:7]
	s_cbranch_execz .LBB10_292
; %bb.280:                              ;   in Loop: Header=BB10_255 Depth=2
	s_mov_b64 s[90:91], exec
	v_mbcnt_lo_u32_b32 v0, s90, 0
	v_mbcnt_hi_u32_b32 v0, s91, v0
	v_cmp_eq_u32_e32 vcc, 0, v0
	s_waitcnt vmcnt(0) lgkmcnt(0)
	buffer_wbinvl1_vol
	s_and_saveexec_b64 s[88:89], vcc
	s_cbranch_execz .LBB10_282
; %bb.281:                              ;   in Loop: Header=BB10_255 Depth=2
	s_bcnt1_i32_b64 s90, s[90:91]
	v_mov_b32_e32 v34, s90
	ds_add_u64 v0, v[34:35]
	s_trap 2
.LBB10_282:                             ;   in Loop: Header=BB10_255 Depth=2
	s_or_b64 exec, exec, s[88:89]
	s_trap 2
	ds_read_b64 v[2:3], v0
	s_waitcnt lgkmcnt(0)
	v_add_co_u32_e32 v14, vcc, v14, v62
	v_addc_co_u32_e32 v15, vcc, 0, v15, vcc
	v_cmp_lt_u64_e32 vcc, v[2:3], v[14:15]
	s_and_saveexec_b64 s[88:89], vcc
	s_cbranch_execz .LBB10_291
; %bb.283:                              ;   in Loop: Header=BB10_255 Depth=2
	s_mov_b32 s36, 0
	s_mov_b64 s[90:91], 0
                                        ; implicit-def: $sgpr92_sgpr93
                                        ; implicit-def: $sgpr94_sgpr95
	s_branch .LBB10_285
.LBB10_284:                             ;   in Loop: Header=BB10_285 Depth=3
	s_or_b64 exec, exec, s[34:35]
	s_and_b64 vcc, exec, vcc
	s_or_b64 s[90:91], vcc, s[90:91]
	s_andn2_b64 s[92:93], s[92:93], exec
	s_and_b64 vcc, s[94:95], exec
	s_or_b64 s[92:93], s[92:93], vcc
	s_andn2_b64 exec, exec, s[90:91]
	s_cbranch_execz .LBB10_289
.LBB10_285:                             ;   Parent Loop BB10_73 Depth=1
                                        ;     Parent Loop BB10_255 Depth=2
                                        ; =>    This Inner Loop Header: Depth=3
	s_add_i32 s36, s36, 1
	s_cmpk_lg_i32 s36, 0x2710
	s_cselect_b64 s[30:31], -1, 0
	s_and_b64 vcc, exec, s[30:31]
	s_cbranch_vccz .LBB10_287
; %bb.286:                              ;   in Loop: Header=BB10_285 Depth=3
	s_mov_b64 vcc, -1
	s_or_b64 s[94:95], s[94:95], exec
	s_and_saveexec_b64 s[34:35], s[30:31]
	s_cbranch_execz .LBB10_284
	s_branch .LBB10_288
.LBB10_287:                             ;   in Loop: Header=BB10_285 Depth=3
	s_trap 2
	ds_read_b64 v[2:3], v0
	s_andn2_b64 s[30:31], s[30:31], exec
	s_mov_b32 s36, 0
	s_waitcnt lgkmcnt(0)
	flat_load_dword v0, v[2:3] glc
	s_waitcnt vmcnt(0) lgkmcnt(0)
	buffer_wbinvl1_vol
	v_cmp_eq_u32_e32 vcc, 0, v0
	s_and_b64 vcc, vcc, exec
	s_or_b64 s[30:31], s[30:31], vcc
	s_mov_b64 vcc, -1
	s_or_b64 s[94:95], s[94:95], exec
	s_and_saveexec_b64 s[34:35], s[30:31]
	s_cbranch_execz .LBB10_284
.LBB10_288:                             ;   in Loop: Header=BB10_285 Depth=3
	s_sleep 1
	s_trap 2
	ds_read_b64 v[2:3], v0
	s_waitcnt lgkmcnt(0)
	s_andn2_b64 s[94:95], s[94:95], exec
	v_cmp_ge_u64_e32 vcc, v[2:3], v[14:15]
	s_orn2_b64 vcc, vcc, exec
	s_branch .LBB10_284
.LBB10_289:                             ;   in Loop: Header=BB10_255 Depth=2
	s_or_b64 exec, exec, s[90:91]
	s_and_saveexec_b64 s[90:91], s[92:93]
	s_xor_b64 s[90:91], exec, s[90:91]
	s_cbranch_execz .LBB10_291
; %bb.290:                              ;   in Loop: Header=BB10_255 Depth=2
	ds_write_b32 v0, v46
	s_trap 2
.LBB10_291:                             ;   in Loop: Header=BB10_255 Depth=2
	s_or_b64 exec, exec, s[88:89]
	;;#ASMSTART
	s_wakeup
	;;#ASMEND
.LBB10_292:                             ;   in Loop: Header=BB10_255 Depth=2
	s_or_b64 exec, exec, s[78:79]
.LBB10_293:                             ;   in Loop: Header=BB10_255 Depth=2
	s_andn2_saveexec_b64 s[76:77], s[76:77]
	s_cbranch_execz .LBB10_295
; %bb.294:                              ;   in Loop: Header=BB10_255 Depth=2
	s_waitcnt vmcnt(0) lgkmcnt(0)
	buffer_wbinvl1_vol
	s_barrier
.LBB10_295:                             ;   in Loop: Header=BB10_255 Depth=2
	s_or_b64 exec, exec, s[76:77]
.LBB10_296:                             ;   in Loop: Header=BB10_255 Depth=2
	s_or_b64 exec, exec, s[28:29]
                                        ; implicit-def: $vgpr0
	s_and_saveexec_b64 s[28:29], s[18:19]
	s_xor_b64 s[28:29], exec, s[28:29]
	s_cbranch_execz .LBB10_301
; %bb.297:                              ;   in Loop: Header=BB10_255 Depth=2
	s_trap 2
	ds_read_b32 v0, v0
	v_cmp_lt_i32_e32 vcc, 0, v52
	v_and_b32_e32 v2, 16, v56
	s_waitcnt lgkmcnt(0)
	v_readfirstlane_b32 s76, v0
	s_cmp_eq_u32 s76, 0
	s_cselect_b64 s[76:77], -1, 0
	s_and_b64 s[76:77], vcc, s[76:77]
	v_cmp_ne_u32_e32 vcc, 0, v2
	v_and_b32_e32 v0, 16, v56
	s_and_b64 s[78:79], vcc, s[76:77]
	s_and_saveexec_b64 s[76:77], s[78:79]
	s_cbranch_execz .LBB10_299
; %bb.298:                              ;   in Loop: Header=BB10_255 Depth=2
	v_mov_b32_e32 v0, 1
	s_waitcnt vmcnt(0)
	buffer_wbinvl1_vol
.LBB10_299:                             ;   in Loop: Header=BB10_255 Depth=2
	s_or_b64 exec, exec, s[76:77]
	s_andn2_saveexec_b64 s[28:29], s[28:29]
	s_cbranch_execnz .LBB10_302
.LBB10_300:                             ;   in Loop: Header=BB10_255 Depth=2
	s_or_b64 exec, exec, s[28:29]
	v_cmp_ne_u32_e32 vcc, 0, v0
	s_and_saveexec_b64 s[28:29], vcc
	s_cbranch_execz .LBB10_254
	s_branch .LBB10_320
.LBB10_301:                             ;   in Loop: Header=BB10_255 Depth=2
	s_andn2_saveexec_b64 s[28:29], s[28:29]
	s_cbranch_execz .LBB10_300
.LBB10_302:                             ;   in Loop: Header=BB10_255 Depth=2
	s_and_saveexec_b64 s[76:77], s[58:59]
	s_xor_b64 s[76:77], exec, s[76:77]
	s_cbranch_execz .LBB10_317
; %bb.303:                              ;   in Loop: Header=BB10_255 Depth=2
	s_and_saveexec_b64 s[78:79], s[6:7]
	s_cbranch_execz .LBB10_316
; %bb.304:                              ;   in Loop: Header=BB10_255 Depth=2
	s_mov_b64 s[90:91], exec
	v_mbcnt_lo_u32_b32 v0, s90, 0
	v_mbcnt_hi_u32_b32 v0, s91, v0
	v_cmp_eq_u32_e32 vcc, 0, v0
	;;#ASMSTART
	s_waitcnt lgkmcnt(0) vmcnt(0)
	;;#ASMEND
	s_and_saveexec_b64 s[88:89], vcc
	s_cbranch_execz .LBB10_306
; %bb.305:                              ;   in Loop: Header=BB10_255 Depth=2
	s_bcnt1_i32_b64 s90, s[90:91]
	v_mov_b32_e32 v34, s90
	s_waitcnt lgkmcnt(0)
	ds_add_u64 v0, v[34:35]
	s_trap 2
.LBB10_306:                             ;   in Loop: Header=BB10_255 Depth=2
	s_or_b64 exec, exec, s[88:89]
	s_trap 2
	ds_read_b64 v[2:3], v0
	s_waitcnt lgkmcnt(0)
	v_add_co_u32_e32 v14, vcc, v14, v62
	v_addc_co_u32_e32 v15, vcc, 0, v15, vcc
	v_cmp_lt_u64_e32 vcc, v[2:3], v[14:15]
	s_and_saveexec_b64 s[88:89], vcc
	s_cbranch_execz .LBB10_315
; %bb.307:                              ;   in Loop: Header=BB10_255 Depth=2
	s_mov_b32 s36, 0
	s_mov_b64 s[90:91], 0
                                        ; implicit-def: $sgpr92_sgpr93
                                        ; implicit-def: $sgpr94_sgpr95
	s_branch .LBB10_309
.LBB10_308:                             ;   in Loop: Header=BB10_309 Depth=3
	s_or_b64 exec, exec, s[34:35]
	s_and_b64 vcc, exec, vcc
	s_or_b64 s[90:91], vcc, s[90:91]
	s_andn2_b64 s[92:93], s[92:93], exec
	s_and_b64 vcc, s[94:95], exec
	s_or_b64 s[92:93], s[92:93], vcc
	s_andn2_b64 exec, exec, s[90:91]
	s_cbranch_execz .LBB10_313
.LBB10_309:                             ;   Parent Loop BB10_73 Depth=1
                                        ;     Parent Loop BB10_255 Depth=2
                                        ; =>    This Inner Loop Header: Depth=3
	s_add_i32 s36, s36, 1
	s_cmpk_lg_i32 s36, 0x2710
	s_cselect_b64 s[30:31], -1, 0
	s_and_b64 vcc, exec, s[30:31]
	s_cbranch_vccz .LBB10_311
; %bb.310:                              ;   in Loop: Header=BB10_309 Depth=3
	s_mov_b64 vcc, -1
	s_or_b64 s[94:95], s[94:95], exec
	s_and_saveexec_b64 s[34:35], s[30:31]
	s_cbranch_execz .LBB10_308
	s_branch .LBB10_312
.LBB10_311:                             ;   in Loop: Header=BB10_309 Depth=3
	s_trap 2
	ds_read_b64 v[2:3], v0
	s_andn2_b64 s[30:31], s[30:31], exec
	s_mov_b32 s36, 0
	s_waitcnt vmcnt(0) lgkmcnt(0)
	flat_load_dword v0, v[2:3] glc
	s_waitcnt vmcnt(0) lgkmcnt(0)
	buffer_wbinvl1_vol
	v_cmp_eq_u32_e32 vcc, 0, v0
	s_and_b64 vcc, vcc, exec
	s_or_b64 s[30:31], s[30:31], vcc
	s_mov_b64 vcc, -1
	s_or_b64 s[94:95], s[94:95], exec
	s_and_saveexec_b64 s[34:35], s[30:31]
	s_cbranch_execz .LBB10_308
.LBB10_312:                             ;   in Loop: Header=BB10_309 Depth=3
	s_sleep 1
	s_trap 2
	ds_read_b64 v[2:3], v0
	s_waitcnt lgkmcnt(0)
	s_andn2_b64 s[94:95], s[94:95], exec
	v_cmp_ge_u64_e32 vcc, v[2:3], v[14:15]
	s_orn2_b64 vcc, vcc, exec
	s_branch .LBB10_308
.LBB10_313:                             ;   in Loop: Header=BB10_255 Depth=2
	s_or_b64 exec, exec, s[90:91]
	s_and_saveexec_b64 s[90:91], s[92:93]
	s_xor_b64 s[90:91], exec, s[90:91]
	s_cbranch_execz .LBB10_315
; %bb.314:                              ;   in Loop: Header=BB10_255 Depth=2
	ds_write_b32 v0, v46
	s_trap 2
.LBB10_315:                             ;   in Loop: Header=BB10_255 Depth=2
	s_or_b64 exec, exec, s[88:89]
	;;#ASMSTART
	s_wakeup
	;;#ASMEND
.LBB10_316:                             ;   in Loop: Header=BB10_255 Depth=2
	s_or_b64 exec, exec, s[78:79]
.LBB10_317:                             ;   in Loop: Header=BB10_255 Depth=2
	s_andn2_saveexec_b64 s[76:77], s[76:77]
	s_cbranch_execz .LBB10_319
; %bb.318:                              ;   in Loop: Header=BB10_255 Depth=2
	;;#ASMSTART
	s_waitcnt lgkmcnt(0) vmcnt(0)
	;;#ASMEND
	s_waitcnt vmcnt(0) lgkmcnt(0)
	s_barrier
.LBB10_319:                             ;   in Loop: Header=BB10_255 Depth=2
	s_or_b64 exec, exec, s[76:77]
	v_and_b32_e32 v0, 16, v56
	s_or_b64 exec, exec, s[28:29]
	v_cmp_ne_u32_e32 vcc, 0, v0
	s_and_saveexec_b64 s[28:29], vcc
	s_cbranch_execz .LBB10_254
.LBB10_320:                             ;   in Loop: Header=BB10_255 Depth=2
	s_and_saveexec_b64 s[76:77], s[22:23]
	s_cbranch_execz .LBB10_253
; %bb.321:                              ;   in Loop: Header=BB10_255 Depth=2
	flat_store_dword v[50:51], v46
	s_branch .LBB10_253
.LBB10_322:                             ;   in Loop: Header=BB10_73 Depth=1
	s_or_b64 exec, exec, s[42:43]
.LBB10_323:                             ;   in Loop: Header=BB10_73 Depth=1
	s_or_b64 exec, exec, s[40:41]
.LBB10_324:                             ;   in Loop: Header=BB10_73 Depth=1
	s_or_saveexec_b64 s[40:41], s[74:75]
	buffer_load_dword v55, off, s[0:3], s33 offset:124 ; 4-byte Folded Reload
	v_ashrrev_i32_e32 v54, 31, v11
	s_xor_b64 exec, exec, s[40:41]
	s_cbranch_execz .LBB10_540
; %bb.325:                              ;   in Loop: Header=BB10_73 Depth=1
	v_mov_b32_e32 v0, 0
	s_waitcnt vmcnt(0)
	v_mov_b32_e32 v2, v55
	v_mov_b32_e32 v22, 0
	s_and_saveexec_b64 s[42:43], s[26:27]
	s_cbranch_execz .LBB10_467
; %bb.326:                              ;   in Loop: Header=BB10_73 Depth=1
	s_mov_b32 s65, 1
	s_mov_b64 s[76:77], -1
	v_mov_b32_e32 v22, 0
	s_mov_b64 s[74:75], 0
	v_mov_b32_e32 v2, v55
	s_branch .LBB10_329
.LBB10_327:                             ;   in Loop: Header=BB10_329 Depth=2
	s_or_b64 exec, exec, s[78:79]
	v_add_co_u32_e32 v48, vcc, 2, v48
	v_addc_co_u32_e32 v49, vcc, 0, v49, vcc
	flat_store_dwordx2 v[24:25], v[48:49]
.LBB10_328:                             ;   in Loop: Header=BB10_329 Depth=2
	s_or_b64 exec, exec, s[28:29]
	v_add_u32_e32 v22, v2, v22
	v_cmp_ge_i32_e32 vcc, v22, v38
	s_xor_b64 s[28:29], s[76:77], -1
	s_or_b64 s[28:29], s[28:29], vcc
	s_and_b64 s[28:29], exec, s[28:29]
	s_or_b64 s[74:75], s[28:29], s[74:75]
	s_mov_b64 s[76:77], 0
	v_mov_b32_e32 v0, s65
	s_mov_b32 s65, 2
	s_andn2_b64 exec, exec, s[74:75]
	s_cbranch_execz .LBB10_466
.LBB10_329:                             ;   Parent Loop BB10_73 Depth=1
                                        ; =>  This Loop Header: Depth=2
                                        ;       Child Loop BB10_337 Depth 3
                                        ;       Child Loop BB10_361 Depth 3
	;; [unrolled: 1-line block ×9, first 2 shown]
	s_and_saveexec_b64 s[28:29], s[4:5]
	s_cbranch_execz .LBB10_331
; %bb.330:                              ;   in Loop: Header=BB10_329 Depth=2
	s_trap 2
	ds_read_b64 v[3:4], v0
	buffer_load_dword v5, off, s[0:3], s33 offset:112 ; 4-byte Folded Reload
	buffer_load_dword v6, off, s[0:3], s33 offset:116 ; 4-byte Folded Reload
	v_mov_b32_e32 v34, v35
	s_waitcnt vmcnt(0) lgkmcnt(0)
	v_add_co_u32_e32 v0, vcc, v3, v5
	v_addc_co_u32_e32 v4, vcc, v4, v6, vcc
	v_ashrrev_i32_e32 v5, 31, v22
	v_add_co_u32_e32 v3, vcc, v0, v22
	v_addc_co_u32_e32 v4, vcc, v4, v5, vcc
	ds_write_b64 v0, v[3:4]
	ds_write_b64 v0, v[34:35]
.LBB10_331:                             ;   in Loop: Header=BB10_329 Depth=2
	s_or_b64 exec, exec, s[28:29]
	v_sub_u32_e32 v0, v38, v22
	v_min_i32_e32 v2, v2, v0
	v_and_b32_e32 v0, 8, v56
	v_cmp_ne_u32_e32 vcc, 0, v0
	s_and_saveexec_b64 s[78:79], vcc
	s_cbranch_execz .LBB10_353
; %bb.332:                              ;   in Loop: Header=BB10_329 Depth=2
	s_waitcnt vmcnt(0) lgkmcnt(0)
	v_add_co_u32_e32 v6, vcc, 8, v32
	v_addc_co_u32_e32 v7, vcc, 0, v33, vcc
	v_add_co_u32_e32 v4, vcc, 2, v48
	v_addc_co_u32_e32 v5, vcc, 0, v49, vcc
	v_cmp_lt_u64_e32 vcc, v[6:7], v[4:5]
	s_and_saveexec_b64 s[88:89], vcc
	s_cbranch_execz .LBB10_344
; %bb.333:                              ;   in Loop: Header=BB10_329 Depth=2
	v_and_b32_e32 v0, 64, v56
	s_mov_b32 s66, 0
	v_cmp_eq_u32_e32 vcc, 0, v0
	s_mov_b64 s[90:91], 0
                                        ; implicit-def: $sgpr92_sgpr93
                                        ; implicit-def: $sgpr94_sgpr95
                                        ; implicit-def: $sgpr30_sgpr31
	s_branch .LBB10_337
.LBB10_334:                             ;   in Loop: Header=BB10_337 Depth=3
	s_waitcnt vmcnt(0) lgkmcnt(0)
	v_add_co_u32_e64 v6, s[28:29], 8, v32
	v_addc_co_u32_e64 v7, s[28:29], 0, v33, s[28:29]
	v_cmp_ge_u64_e64 s[28:29], v[6:7], v[4:5]
	s_or_b64 s[38:39], s[38:39], exec
	s_orn2_b64 s[36:37], s[28:29], exec
.LBB10_335:                             ;   in Loop: Header=BB10_337 Depth=3
	s_or_b64 exec, exec, s[50:51]
	s_andn2_b64 s[28:29], s[30:31], exec
	s_and_b64 s[30:31], s[38:39], exec
	s_or_b64 s[30:31], s[28:29], s[30:31]
	s_andn2_b64 s[28:29], s[94:95], exec
	s_and_b64 s[94:95], s[36:37], exec
	s_or_b64 s[94:95], s[28:29], s[94:95]
.LBB10_336:                             ;   in Loop: Header=BB10_337 Depth=3
	s_or_b64 exec, exec, s[34:35]
	s_and_b64 s[28:29], exec, s[94:95]
	s_or_b64 s[90:91], s[28:29], s[90:91]
	s_andn2_b64 s[28:29], s[92:93], exec
	s_and_b64 s[92:93], s[30:31], exec
	s_or_b64 s[92:93], s[28:29], s[92:93]
	s_andn2_b64 exec, exec, s[90:91]
	s_cbranch_execz .LBB10_341
.LBB10_337:                             ;   Parent Loop BB10_73 Depth=1
                                        ;     Parent Loop BB10_329 Depth=2
                                        ; =>    This Inner Loop Header: Depth=3
	s_sleep 1
	s_waitcnt vmcnt(0) lgkmcnt(0)
	flat_load_dwordx2 v[32:33], v[24:25] glc
	s_or_b64 s[30:31], s[30:31], exec
	s_or_b64 s[94:95], s[94:95], exec
                                        ; implicit-def: $vgpr0
	s_and_saveexec_b64 s[34:35], vcc
	s_cbranch_execz .LBB10_336
; %bb.338:                              ;   in Loop: Header=BB10_337 Depth=3
	s_cmpk_lt_i32 s66, 0x270f
	s_cselect_b64 s[48:49], -1, 0
	s_cmpk_gt_i32 s66, 0x270e
	s_mov_b64 s[36:37], -1
	s_cbranch_scc0 .LBB10_340
; %bb.339:                              ;   in Loop: Header=BB10_337 Depth=3
	s_trap 2
	ds_read_b64 v[6:7], v0
	s_andn2_b64 s[48:49], s[48:49], exec
	s_mov_b32 s66, 0
	s_mov_b64 s[38:39], 0
	s_waitcnt vmcnt(0) lgkmcnt(0)
	flat_load_dword v0, v[6:7] glc
	s_waitcnt vmcnt(0) lgkmcnt(0)
	buffer_wbinvl1_vol
	v_cmp_eq_u32_e64 s[28:29], 0, v0
	s_and_b64 s[28:29], s[28:29], exec
	s_or_b64 s[48:49], s[48:49], s[28:29]
	s_and_saveexec_b64 s[50:51], s[48:49]
	s_cbranch_execz .LBB10_335
	s_branch .LBB10_334
.LBB10_340:                             ;   in Loop: Header=BB10_337 Depth=3
	s_add_i32 s66, s66, 1
	s_mov_b64 s[38:39], -1
                                        ; implicit-def: $vgpr0
	s_and_saveexec_b64 s[50:51], s[48:49]
	s_cbranch_execz .LBB10_335
	s_branch .LBB10_334
.LBB10_341:                             ;   in Loop: Header=BB10_329 Depth=2
	s_or_b64 exec, exec, s[90:91]
	s_xor_b64 s[28:29], s[92:93], -1
	s_and_saveexec_b64 s[90:91], s[28:29]
	s_xor_b64 s[28:29], exec, s[90:91]
	s_cbranch_execz .LBB10_343
; %bb.342:                              ;   in Loop: Header=BB10_329 Depth=2
	v_or_b32_e32 v56, 64, v56
	s_waitcnt lgkmcnt(0)
	ds_write_b32 v0, v0
	s_trap 2
.LBB10_343:                             ;   in Loop: Header=BB10_329 Depth=2
	s_or_b64 exec, exec, s[28:29]
.LBB10_344:                             ;   in Loop: Header=BB10_329 Depth=2
	s_or_b64 exec, exec, s[88:89]
	v_and_b32_e32 v0, 0x100, v56
	v_cmp_ne_u32_e32 vcc, 0, v0
	v_and_b32_e32 v0, 7, v48
	s_mov_b64 s[28:29], -1
	;;#ASMSTART
	s_wakeup
	;;#ASMEND
                                        ; implicit-def: $vgpr48_vgpr49
	s_and_saveexec_b64 s[88:89], vcc
	s_cbranch_execz .LBB10_348
; %bb.345:                              ;   in Loop: Header=BB10_329 Depth=2
	v_mad_u64_u32 v[52:53], s[28:29], v0, 24, v[26:27]
	v_ashrrev_i32_e32 v3, 31, v2
                                        ; implicit-def: $vgpr48_vgpr49
	flat_load_dword v6, v[52:53]
	s_nop 0
	flat_store_dwordx2 v[52:53], v[2:3] offset:8
	s_waitcnt vmcnt(0) lgkmcnt(0)
	v_cmp_ne_u32_e32 vcc, 1, v6
	v_cmp_eq_u32_e64 s[28:29], 1, v6
	s_and_saveexec_b64 s[90:91], s[28:29]
	s_cbranch_execz .LBB10_347
; %bb.346:                              ;   in Loop: Header=BB10_329 Depth=2
	flat_load_dword v48, v[52:53] offset:4 glc
	s_waitcnt vmcnt(0) lgkmcnt(0)
	v_ashrrev_i32_e32 v49, 31, v48
.LBB10_347:                             ;   in Loop: Header=BB10_329 Depth=2
	s_or_b64 exec, exec, s[90:91]
	s_orn2_b64 s[28:29], vcc, exec
.LBB10_348:                             ;   in Loop: Header=BB10_329 Depth=2
	s_or_b64 exec, exec, s[88:89]
	s_and_saveexec_b64 s[88:89], s[28:29]
; %bb.349:                              ;   in Loop: Header=BB10_329 Depth=2
	v_mad_i64_i32 v[48:49], s[28:29], v0, v61, 0
; %bb.350:                              ;   in Loop: Header=BB10_329 Depth=2
	s_or_b64 exec, exec, s[88:89]
	v_add_co_u32_e32 v6, vcc, v12, v48
	v_addc_co_u32_e32 v7, vcc, v13, v49, vcc
	ds_write_b64 v0, v[6:7] offset:784
	v_and_b32_e32 v0, 0x2000, v56
	v_cmp_ne_u32_e32 vcc, 0, v0
	s_and_saveexec_b64 s[28:29], vcc
	s_cbranch_execz .LBB10_352
; %bb.351:                              ;   in Loop: Header=BB10_329 Depth=2
	ds_read_b64 v[6:7], v0 offset:872
	s_waitcnt lgkmcnt(0)
	v_add_co_u32_e32 v6, vcc, 1, v6
	v_addc_co_u32_e32 v7, vcc, 0, v7, vcc
	ds_write_b64 v0, v[6:7] offset:872
.LBB10_352:                             ;   in Loop: Header=BB10_329 Depth=2
	s_or_b64 exec, exec, s[28:29]
	v_mov_b32_e32 v49, v5
	v_mov_b32_e32 v48, v4
.LBB10_353:                             ;   in Loop: Header=BB10_329 Depth=2
	s_or_b64 exec, exec, s[78:79]
	s_and_saveexec_b64 s[28:29], s[12:13]
	s_cbranch_execz .LBB10_372
; %bb.354:                              ;   in Loop: Header=BB10_329 Depth=2
	s_and_saveexec_b64 s[78:79], s[58:59]
	s_xor_b64 s[78:79], exec, s[78:79]
	s_cbranch_execz .LBB10_369
; %bb.355:                              ;   in Loop: Header=BB10_329 Depth=2
	s_and_saveexec_b64 s[88:89], s[6:7]
	s_cbranch_execz .LBB10_368
; %bb.356:                              ;   in Loop: Header=BB10_329 Depth=2
	s_mov_b64 s[92:93], exec
	v_mbcnt_lo_u32_b32 v0, s92, 0
	v_mbcnt_hi_u32_b32 v0, s93, v0
	v_cmp_eq_u32_e32 vcc, 0, v0
	s_waitcnt vmcnt(0) lgkmcnt(0)
	buffer_wbinvl1_vol
	s_and_saveexec_b64 s[90:91], vcc
	s_cbranch_execz .LBB10_358
; %bb.357:                              ;   in Loop: Header=BB10_329 Depth=2
	s_bcnt1_i32_b64 s92, s[92:93]
	v_mov_b32_e32 v34, s92
	ds_add_u64 v0, v[34:35]
	s_trap 2
.LBB10_358:                             ;   in Loop: Header=BB10_329 Depth=2
	s_or_b64 exec, exec, s[90:91]
	s_trap 2
	ds_read_b64 v[3:4], v0
	s_waitcnt lgkmcnt(0)
	v_add_co_u32_e32 v14, vcc, v14, v62
	v_addc_co_u32_e32 v15, vcc, 0, v15, vcc
	v_cmp_lt_u64_e32 vcc, v[3:4], v[14:15]
	s_and_saveexec_b64 s[90:91], vcc
	s_cbranch_execz .LBB10_367
; %bb.359:                              ;   in Loop: Header=BB10_329 Depth=2
	s_mov_b32 s38, 0
	s_mov_b64 s[92:93], 0
                                        ; implicit-def: $sgpr94_sgpr95
                                        ; implicit-def: $sgpr30_sgpr31
	s_branch .LBB10_361
.LBB10_360:                             ;   in Loop: Header=BB10_361 Depth=3
	s_or_b64 exec, exec, s[36:37]
	s_and_b64 vcc, exec, vcc
	s_or_b64 s[92:93], vcc, s[92:93]
	s_andn2_b64 s[94:95], s[94:95], exec
	s_and_b64 vcc, s[30:31], exec
	s_or_b64 s[94:95], s[94:95], vcc
	s_andn2_b64 exec, exec, s[92:93]
	s_cbranch_execz .LBB10_365
.LBB10_361:                             ;   Parent Loop BB10_73 Depth=1
                                        ;     Parent Loop BB10_329 Depth=2
                                        ; =>    This Inner Loop Header: Depth=3
	s_add_i32 s38, s38, 1
	s_cmpk_lg_i32 s38, 0x2710
	s_cselect_b64 s[34:35], -1, 0
	s_and_b64 vcc, exec, s[34:35]
	s_cbranch_vccz .LBB10_363
; %bb.362:                              ;   in Loop: Header=BB10_361 Depth=3
	s_mov_b64 vcc, -1
	s_or_b64 s[30:31], s[30:31], exec
	s_and_saveexec_b64 s[36:37], s[34:35]
	s_cbranch_execz .LBB10_360
	s_branch .LBB10_364
.LBB10_363:                             ;   in Loop: Header=BB10_361 Depth=3
	s_trap 2
	ds_read_b64 v[3:4], v0
	s_andn2_b64 s[34:35], s[34:35], exec
	s_mov_b32 s38, 0
	s_waitcnt lgkmcnt(0)
	flat_load_dword v0, v[3:4] glc
	s_waitcnt vmcnt(0) lgkmcnt(0)
	buffer_wbinvl1_vol
	v_cmp_eq_u32_e32 vcc, 0, v0
	s_and_b64 vcc, vcc, exec
	s_or_b64 s[34:35], s[34:35], vcc
	s_mov_b64 vcc, -1
	s_or_b64 s[30:31], s[30:31], exec
	s_and_saveexec_b64 s[36:37], s[34:35]
	s_cbranch_execz .LBB10_360
.LBB10_364:                             ;   in Loop: Header=BB10_361 Depth=3
	s_sleep 1
	s_trap 2
	ds_read_b64 v[3:4], v0
	s_waitcnt lgkmcnt(0)
	s_andn2_b64 s[30:31], s[30:31], exec
	v_cmp_ge_u64_e32 vcc, v[3:4], v[14:15]
	s_orn2_b64 vcc, vcc, exec
	s_branch .LBB10_360
.LBB10_365:                             ;   in Loop: Header=BB10_329 Depth=2
	s_or_b64 exec, exec, s[92:93]
	s_and_saveexec_b64 s[92:93], s[94:95]
	s_xor_b64 s[92:93], exec, s[92:93]
	s_cbranch_execz .LBB10_367
; %bb.366:                              ;   in Loop: Header=BB10_329 Depth=2
	ds_write_b32 v0, v46
	s_trap 2
.LBB10_367:                             ;   in Loop: Header=BB10_329 Depth=2
	s_or_b64 exec, exec, s[90:91]
	;;#ASMSTART
	s_wakeup
	;;#ASMEND
.LBB10_368:                             ;   in Loop: Header=BB10_329 Depth=2
	s_or_b64 exec, exec, s[88:89]
.LBB10_369:                             ;   in Loop: Header=BB10_329 Depth=2
	s_andn2_saveexec_b64 s[78:79], s[78:79]
	s_cbranch_execz .LBB10_371
; %bb.370:                              ;   in Loop: Header=BB10_329 Depth=2
	s_waitcnt vmcnt(0) lgkmcnt(0)
	buffer_wbinvl1_vol
	s_barrier
.LBB10_371:                             ;   in Loop: Header=BB10_329 Depth=2
	s_or_b64 exec, exec, s[78:79]
.LBB10_372:                             ;   in Loop: Header=BB10_329 Depth=2
	s_or_b64 exec, exec, s[28:29]
	s_trap 2
	ds_read_b32 v0, v0
	v_and_b32_e32 v3, 0x4000, v56
	v_cmp_ne_u32_e32 vcc, 0, v3
	s_xor_b64 s[28:29], s[10:11], -1
	s_and_b64 s[78:79], s[28:29], vcc
	s_and_saveexec_b64 s[28:29], s[78:79]
	s_cbranch_execz .LBB10_391
; %bb.373:                              ;   in Loop: Header=BB10_329 Depth=2
	s_and_saveexec_b64 s[78:79], s[58:59]
	s_xor_b64 s[78:79], exec, s[78:79]
	s_cbranch_execz .LBB10_388
; %bb.374:                              ;   in Loop: Header=BB10_329 Depth=2
	s_and_saveexec_b64 s[88:89], s[6:7]
	s_cbranch_execz .LBB10_387
; %bb.375:                              ;   in Loop: Header=BB10_329 Depth=2
	s_mov_b64 s[92:93], exec
	v_mbcnt_lo_u32_b32 v3, s92, 0
	v_mbcnt_hi_u32_b32 v3, s93, v3
	v_cmp_eq_u32_e32 vcc, 0, v3
	s_waitcnt vmcnt(0) lgkmcnt(0)
	buffer_wbinvl1_vol
	s_and_saveexec_b64 s[90:91], vcc
	s_cbranch_execz .LBB10_377
; %bb.376:                              ;   in Loop: Header=BB10_329 Depth=2
	s_bcnt1_i32_b64 s92, s[92:93]
	v_mov_b32_e32 v34, s92
	ds_add_u64 v0, v[34:35]
	s_trap 2
.LBB10_377:                             ;   in Loop: Header=BB10_329 Depth=2
	s_or_b64 exec, exec, s[90:91]
	s_trap 2
	ds_read_b64 v[3:4], v0
	s_waitcnt lgkmcnt(0)
	v_add_co_u32_e32 v14, vcc, v14, v62
	v_addc_co_u32_e32 v15, vcc, 0, v15, vcc
	v_cmp_lt_u64_e32 vcc, v[3:4], v[14:15]
	s_and_saveexec_b64 s[90:91], vcc
	s_cbranch_execz .LBB10_386
; %bb.378:                              ;   in Loop: Header=BB10_329 Depth=2
	s_mov_b32 s38, 0
	s_mov_b64 s[92:93], 0
                                        ; implicit-def: $sgpr94_sgpr95
                                        ; implicit-def: $sgpr30_sgpr31
	s_branch .LBB10_380
.LBB10_379:                             ;   in Loop: Header=BB10_380 Depth=3
	s_or_b64 exec, exec, s[36:37]
	s_and_b64 vcc, exec, vcc
	s_or_b64 s[92:93], vcc, s[92:93]
	s_andn2_b64 s[94:95], s[94:95], exec
	s_and_b64 vcc, s[30:31], exec
	s_or_b64 s[94:95], s[94:95], vcc
	s_andn2_b64 exec, exec, s[92:93]
	s_cbranch_execz .LBB10_384
.LBB10_380:                             ;   Parent Loop BB10_73 Depth=1
                                        ;     Parent Loop BB10_329 Depth=2
                                        ; =>    This Inner Loop Header: Depth=3
	s_add_i32 s38, s38, 1
	s_cmpk_lg_i32 s38, 0x2710
	s_cselect_b64 s[34:35], -1, 0
	s_and_b64 vcc, exec, s[34:35]
	s_cbranch_vccz .LBB10_382
; %bb.381:                              ;   in Loop: Header=BB10_380 Depth=3
	s_mov_b64 vcc, -1
	s_or_b64 s[30:31], s[30:31], exec
	s_and_saveexec_b64 s[36:37], s[34:35]
	s_cbranch_execz .LBB10_379
	s_branch .LBB10_383
.LBB10_382:                             ;   in Loop: Header=BB10_380 Depth=3
	s_trap 2
	ds_read_b64 v[3:4], v0
	s_andn2_b64 s[34:35], s[34:35], exec
	s_mov_b32 s38, 0
	s_waitcnt lgkmcnt(0)
	flat_load_dword v3, v[3:4] glc
	s_waitcnt vmcnt(0) lgkmcnt(0)
	buffer_wbinvl1_vol
	v_cmp_eq_u32_e32 vcc, 0, v3
	s_and_b64 vcc, vcc, exec
	s_or_b64 s[34:35], s[34:35], vcc
	s_mov_b64 vcc, -1
	s_or_b64 s[30:31], s[30:31], exec
	s_and_saveexec_b64 s[36:37], s[34:35]
	s_cbranch_execz .LBB10_379
.LBB10_383:                             ;   in Loop: Header=BB10_380 Depth=3
	s_sleep 1
	s_trap 2
	ds_read_b64 v[3:4], v0
	s_waitcnt lgkmcnt(0)
	s_andn2_b64 s[30:31], s[30:31], exec
	v_cmp_ge_u64_e32 vcc, v[3:4], v[14:15]
	s_orn2_b64 vcc, vcc, exec
	s_branch .LBB10_379
.LBB10_384:                             ;   in Loop: Header=BB10_329 Depth=2
	s_or_b64 exec, exec, s[92:93]
	s_and_saveexec_b64 s[92:93], s[94:95]
	s_xor_b64 s[92:93], exec, s[92:93]
	s_cbranch_execz .LBB10_386
; %bb.385:                              ;   in Loop: Header=BB10_329 Depth=2
	ds_write_b32 v0, v46
	s_trap 2
.LBB10_386:                             ;   in Loop: Header=BB10_329 Depth=2
	s_or_b64 exec, exec, s[90:91]
	;;#ASMSTART
	s_wakeup
	;;#ASMEND
.LBB10_387:                             ;   in Loop: Header=BB10_329 Depth=2
	s_or_b64 exec, exec, s[88:89]
.LBB10_388:                             ;   in Loop: Header=BB10_329 Depth=2
	s_andn2_saveexec_b64 s[78:79], s[78:79]
	s_cbranch_execz .LBB10_390
; %bb.389:                              ;   in Loop: Header=BB10_329 Depth=2
	s_waitcnt vmcnt(0) lgkmcnt(0)
	buffer_wbinvl1_vol
	s_barrier
.LBB10_390:                             ;   in Loop: Header=BB10_329 Depth=2
	s_or_b64 exec, exec, s[78:79]
.LBB10_391:                             ;   in Loop: Header=BB10_329 Depth=2
	s_or_b64 exec, exec, s[28:29]
	s_trap 2
	s_waitcnt lgkmcnt(0)
	ds_read_b64 v[3:4], v0
	s_waitcnt lgkmcnt(0)
	v_cmp_eq_u64_e32 vcc, 0, v[3:4]
	s_cbranch_vccnz .LBB10_399
; %bb.392:                              ;   in Loop: Header=BB10_329 Depth=2
	s_trap 2
	ds_read_b64 v[52:53], v0
	s_waitcnt lgkmcnt(0)
	v_cmp_eq_u64_e32 vcc, 0, v[52:53]
	s_cbranch_vccnz .LBB10_399
; %bb.393:                              ;   in Loop: Header=BB10_329 Depth=2
	s_mov_b64 s[28:29], -1
	s_and_saveexec_b64 s[78:79], s[14:15]
	s_cbranch_execz .LBB10_395
; %bb.394:                              ;   in Loop: Header=BB10_329 Depth=2
	ds_read_b32 v5, v0 offset:720
	s_waitcnt lgkmcnt(0)
	v_and_b32_e32 v5, 15, v5
	v_cmp_eq_u32_e32 vcc, 0, v5
	s_orn2_b64 s[28:29], vcc, exec
.LBB10_395:                             ;   in Loop: Header=BB10_329 Depth=2
	s_or_b64 exec, exec, s[78:79]
	s_and_saveexec_b64 s[78:79], s[24:25]
	s_cbranch_execz .LBB10_397
; %bb.396:                              ;   in Loop: Header=BB10_329 Depth=2
	ds_read_b32 v5, v0 offset:784
	s_waitcnt lgkmcnt(0)
	v_and_b32_e32 v5, 15, v5
	v_cmp_eq_u32_e32 vcc, 0, v5
	s_and_b64 s[88:89], s[28:29], vcc
	s_andn2_b64 s[28:29], s[28:29], exec
	s_and_b64 s[88:89], s[88:89], exec
	s_or_b64 s[28:29], s[28:29], s[88:89]
.LBB10_397:                             ;   in Loop: Header=BB10_329 Depth=2
	s_or_b64 exec, exec, s[78:79]
	v_cmp_eq_u32_e32 vcc, 0, v0
	s_xor_b64 s[28:29], s[28:29], -1
	v_cndmask_b32_e32 v30, 0, v2, vcc
	v_cndmask_b32_e64 v0, 0, 1, s[28:29]
	s_mov_b64 s[88:89], -1
	v_cmp_ne_u32_e32 vcc, 0, v0
	v_mov_b32_e32 v0, 0
	v_mov_b32_e32 v16, v30
	s_waitcnt vmcnt(0)
	v_mov_b32_e32 v8, v59
	v_mov_b32_e32 v19, v60
	s_cbranch_vccz .LBB10_405
; %bb.398:                              ;   in Loop: Header=BB10_329 Depth=2
	s_and_saveexec_b64 s[28:29], s[88:89]
	s_cbranch_execnz .LBB10_418
	s_branch .LBB10_426
.LBB10_399:                             ;   in Loop: Header=BB10_329 Depth=2
	s_mov_b64 s[28:29], 0
	s_and_saveexec_b64 s[78:79], s[12:13]
	s_cbranch_execnz .LBB10_427
.LBB10_400:                             ;   in Loop: Header=BB10_329 Depth=2
	s_or_b64 exec, exec, s[78:79]
                                        ; implicit-def: $vgpr0
	s_and_saveexec_b64 s[78:79], s[18:19]
	s_xor_b64 s[78:79], exec, s[78:79]
	s_cbranch_execz .LBB10_445
.LBB10_401:                             ;   in Loop: Header=BB10_329 Depth=2
	v_and_b32_e32 v3, 16, v56
	v_cmp_ne_u32_e32 vcc, 0, v3
	v_and_b32_e32 v0, 16, v56
	s_and_b64 s[88:89], vcc, s[28:29]
	s_and_saveexec_b64 s[28:29], s[88:89]
	s_cbranch_execz .LBB10_403
; %bb.402:                              ;   in Loop: Header=BB10_329 Depth=2
	v_mov_b32_e32 v0, 1
	s_waitcnt vmcnt(0) lgkmcnt(0)
	buffer_wbinvl1_vol
.LBB10_403:                             ;   in Loop: Header=BB10_329 Depth=2
	s_or_b64 exec, exec, s[28:29]
	s_andn2_saveexec_b64 s[28:29], s[78:79]
	s_cbranch_execnz .LBB10_446
.LBB10_404:                             ;   in Loop: Header=BB10_329 Depth=2
	s_or_b64 exec, exec, s[28:29]
	v_cmp_ne_u32_e32 vcc, 0, v0
	s_and_saveexec_b64 s[28:29], vcc
	s_cbranch_execz .LBB10_328
	s_branch .LBB10_464
.LBB10_405:                             ;   in Loop: Header=BB10_329 Depth=2
	v_ashrrev_i32_e32 v0, 31, v30
	v_lshrrev_b32_e32 v0, 20, v0
	v_add_u32_e32 v0, v30, v0
	v_ashrrev_i32_e32 v0, 12, v0
	v_sub_u32_e32 v18, v0, v60
	v_cmp_lt_i32_e32 vcc, 0, v18
	s_and_saveexec_b64 s[28:29], vcc
	s_cbranch_execz .LBB10_409
; %bb.406:                              ;   in Loop: Header=BB10_329 Depth=2
	v_mov_b32_e32 v19, v54
	v_mov_b32_e32 v55, v53
	;; [unrolled: 1-line block ×3, first 2 shown]
	s_mov_b64 s[78:79], 0
	v_mov_b32_e32 v54, v52
	v_mov_b32_e32 v40, v3
	v_lshlrev_b32_e32 v20, 12, v62
.LBB10_407:                             ;   Parent Loop BB10_73 Depth=1
                                        ;     Parent Loop BB10_329 Depth=2
                                        ; =>    This Inner Loop Header: Depth=3
	v_add_co_u32_e32 v16, vcc, v11, v40
	v_addc_co_u32_e32 v17, vcc, v19, v41, vcc
	global_load_dwordx4 v[42:45], v[16:17], off glc slc
	global_load_dwordx4 v[57:60], v[16:17], off offset:1024 glc slc
	global_load_dwordx4 v[5:8], v[16:17], off offset:2048 glc slc
	;; [unrolled: 1-line block ×3, first 2 shown]
	v_add_co_u32_e32 v16, vcc, v11, v54
	v_addc_co_u32_e32 v17, vcc, v19, v55, vcc
	v_add_co_u32_e32 v40, vcc, v40, v20
	v_addc_co_u32_e32 v41, vcc, 0, v41, vcc
	v_add_co_u32_e32 v54, vcc, v54, v20
	v_sub_u32_e32 v18, v18, v62
	v_addc_co_u32_e32 v55, vcc, 0, v55, vcc
	v_cmp_gt_i32_e32 vcc, 1, v18
	s_or_b64 s[78:79], vcc, s[78:79]
	s_waitcnt vmcnt(0)
	global_store_dwordx4 v[16:17], v[42:45], off glc slc
	global_store_dwordx4 v[16:17], v[57:60], off offset:1024 glc slc
	global_store_dwordx4 v[16:17], v[5:8], off offset:2048 glc slc
	;; [unrolled: 1-line block ×3, first 2 shown]
	s_andn2_b64 exec, exec, s[78:79]
	s_cbranch_execnz .LBB10_407
; %bb.408:                              ;   in Loop: Header=BB10_329 Depth=2
	s_or_b64 exec, exec, s[78:79]
	buffer_load_dword v59, off, s[0:3], s33 offset:136 ; 4-byte Folded Reload
	buffer_load_dword v26, off, s[0:3], s33 offset:72 ; 4-byte Folded Reload
	;; [unrolled: 1-line block ×8, first 2 shown]
	v_mov_b32_e32 v54, v19
	v_mov_b32_e32 v46, 1
	;; [unrolled: 1-line block ×4, first 2 shown]
.LBB10_409:                             ;   in Loop: Header=BB10_329 Depth=2
	s_or_b64 exec, exec, s[28:29]
	v_lshlrev_b32_e32 v17, 12, v0
	v_cmp_ne_u32_e32 vcc, v30, v17
	s_mov_b64 s[88:89], 0
	v_mov_b32_e32 v0, 0
                                        ; implicit-def: $vgpr16
                                        ; implicit-def: $vgpr8
                                        ; implicit-def: $vgpr19
	s_and_saveexec_b64 s[78:79], vcc
	s_cbranch_execz .LBB10_417
; %bb.410:                              ;   in Loop: Header=BB10_329 Depth=2
	buffer_load_dword v6, off, s[0:3], s33 offset:108 ; 4-byte Folded Reload
	v_lshlrev_b32_e32 v0, 6, v18
	v_sub_u32_e32 v5, v30, v17
	s_waitcnt vmcnt(0)
	v_sub_u32_e32 v0, v6, v0
	v_ashrrev_i32_e32 v6, 31, v0
	v_lshrrev_b32_e32 v6, 26, v6
	v_add_u32_e32 v6, v0, v6
	v_ashrrev_i32_e32 v7, 6, v6
	v_and_b32_e32 v6, 0xffffffc0, v6
	v_sub_u32_e32 v18, v0, v6
	v_ashrrev_i32_e32 v6, 31, v5
	v_lshrrev_b32_e32 v6, 22, v6
	v_add_u32_e32 v6, v5, v6
	v_and_b32_e32 v20, 0xfffffc00, v6
	v_lshlrev_b32_e32 v0, 4, v18
	v_sub_u32_e32 v28, v5, v20
	v_lshl_add_u32 v8, v7, 10, v0
	v_ashrrev_i32_e32 v16, 10, v6
	v_cmp_lt_i32_e32 vcc, 15, v28
	v_sub_u32_e32 v0, v5, v8
	v_addc_co_u32_e64 v5, s[28:29], 0, v16, vcc
	v_sub_u32_e32 v21, v5, v7
	v_cmp_lt_i32_e64 s[28:29], 15, v0
	s_and_saveexec_b64 s[88:89], s[28:29]
	s_cbranch_execz .LBB10_414
; %bb.411:                              ;   in Loop: Header=BB10_329 Depth=2
	v_add_u32_e32 v8, v8, v17
	v_ashrrev_i32_e32 v16, 31, v8
	s_mov_b64 s[90:91], 0
.LBB10_412:                             ;   Parent Loop BB10_73 Depth=1
                                        ;     Parent Loop BB10_329 Depth=2
                                        ; =>    This Inner Loop Header: Depth=3
	v_add_co_u32_e64 v5, s[28:29], v3, v8
	v_addc_co_u32_e64 v6, s[28:29], v4, v16, s[28:29]
	global_load_dwordx4 v[39:42], v[5:6], off glc slc
	v_add_co_u32_e64 v5, s[28:29], v52, v8
	v_addc_co_u32_e64 v6, s[28:29], v53, v16, s[28:29]
	v_add_co_u32_e64 v8, s[28:29], v8, v31
	v_sub_u32_e32 v0, v0, v36
	v_addc_co_u32_e64 v16, s[28:29], v16, v1, s[28:29]
	v_cmp_gt_i32_e64 s[28:29], 16, v0
	v_sub_u32_e32 v21, v21, v62
	s_or_b64 s[90:91], s[28:29], s[90:91]
	s_waitcnt vmcnt(0)
	global_store_dwordx4 v[5:6], v[39:42], off glc slc
	s_andn2_b64 exec, exec, s[90:91]
	s_cbranch_execnz .LBB10_412
; %bb.413:                              ;   in Loop: Header=BB10_329 Depth=2
	s_or_b64 exec, exec, s[90:91]
	buffer_load_dword v39, off, s[0:3], s33 offset:88 ; 4-byte Folded Reload
.LBB10_414:                             ;   in Loop: Header=BB10_329 Depth=2
	s_or_b64 exec, exec, s[88:89]
	v_and_b32_e32 v29, 15, v30
	v_cndmask_b32_e32 v16, v28, v29, vcc
	v_mov_b32_e32 v0, 0
	v_cmp_ne_u32_e64 s[28:29], 0, v16
	s_mov_b64 s[90:91], 0
                                        ; implicit-def: $vgpr8
                                        ; implicit-def: $vgpr19
	s_and_saveexec_b64 s[88:89], s[28:29]
	s_cbranch_execz .LBB10_416
; %bb.415:                              ;   in Loop: Header=BB10_329 Depth=2
	v_sub_u32_e32 v0, v28, v29
	v_cndmask_b32_e32 v0, 0, v0, vcc
	v_cmp_lt_i32_e32 vcc, 0, v21
	v_cndmask_b32_e32 v5, 0, v62, vcc
	v_sub_u32_e32 v5, v5, v21
	v_lshl_add_u32 v8, v5, 6, v18
	v_ashrrev_i32_e32 v5, 31, v8
	v_lshrrev_b32_e32 v5, 26, v5
	v_add_u32_e32 v5, v8, v5
	v_add3_u32 v0, v20, v17, v0
	v_ashrrev_i32_e32 v19, 6, v5
	s_mov_b64 s[90:91], exec
.LBB10_416:                             ;   in Loop: Header=BB10_329 Depth=2
	s_or_b64 exec, exec, s[88:89]
	buffer_load_dword v26, off, s[0:3], s33 offset:72 ; 4-byte Folded Reload
	buffer_load_dword v27, off, s[0:3], s33 offset:76 ; 4-byte Folded Reload
	;; [unrolled: 1-line block ×4, first 2 shown]
	s_and_b64 s[88:89], s[90:91], exec
.LBB10_417:                             ;   in Loop: Header=BB10_329 Depth=2
	s_or_b64 exec, exec, s[78:79]
	buffer_load_dword v18, off, s[0:3], s33 offset:68 ; 4-byte Folded Reload
	s_and_saveexec_b64 s[28:29], s[88:89]
	s_cbranch_execz .LBB10_426
.LBB10_418:                             ;   in Loop: Header=BB10_329 Depth=2
	v_ashrrev_i32_e32 v5, 31, v16
	v_lshrrev_b32_e32 v5, 22, v5
	v_add_u32_e32 v5, v16, v5
	s_waitcnt vmcnt(0)
	v_ashrrev_i32_e32 v18, 10, v5
	v_sub_u32_e32 v17, v18, v19
	v_cmp_lt_i32_e32 vcc, 0, v17
	s_and_saveexec_b64 s[78:79], vcc
	s_cbranch_execz .LBB10_422
; %bb.419:                              ;   in Loop: Header=BB10_329 Depth=2
	v_ashrrev_i32_e32 v5, 31, v8
	v_lshrrev_b32_e32 v5, 26, v5
	v_add_u32_e32 v5, v8, v5
	v_and_b32_e32 v5, 0xffffffc0, v5
	v_sub_u32_e32 v5, v8, v5
	v_lshlrev_b32_e32 v6, 10, v19
	v_add3_u32 v19, v0, v5, v6
	v_ashrrev_i32_e32 v20, 31, v19
	s_mov_b64 s[88:89], 0
.LBB10_420:                             ;   Parent Loop BB10_73 Depth=1
                                        ;     Parent Loop BB10_329 Depth=2
                                        ; =>    This Inner Loop Header: Depth=3
	v_add_co_u32_e32 v5, vcc, v19, v3
	v_addc_co_u32_e32 v6, vcc, v20, v4, vcc
	flat_load_ubyte v7, v[5:6] glc slc
	flat_load_ubyte v21, v[5:6] offset:64 glc slc
	flat_load_ubyte v26, v[5:6] offset:128 glc slc
	;; [unrolled: 1-line block ×15, first 2 shown]
	v_add_co_u32_e32 v5, vcc, v19, v52
	v_addc_co_u32_e32 v6, vcc, v20, v53, vcc
	v_add_co_u32_e32 v3, vcc, v3, v31
	v_addc_co_u32_e32 v4, vcc, v4, v1, vcc
	v_add_co_u32_e32 v52, vcc, v52, v31
	v_sub_u32_e32 v17, v17, v62
	v_addc_co_u32_e32 v53, vcc, v53, v1, vcc
	v_cmp_gt_i32_e32 vcc, 1, v17
	s_or_b64 s[88:89], vcc, s[88:89]
	s_waitcnt vmcnt(0) lgkmcnt(0)
	flat_store_byte v[5:6], v7 glc slc
	flat_store_byte v[5:6], v21 offset:64 glc slc
	flat_store_byte v[5:6], v26 offset:128 glc slc
	;; [unrolled: 1-line block ×15, first 2 shown]
	s_andn2_b64 exec, exec, s[88:89]
	s_cbranch_execnz .LBB10_420
; %bb.421:                              ;   in Loop: Header=BB10_329 Depth=2
	s_or_b64 exec, exec, s[88:89]
	buffer_load_dword v26, off, s[0:3], s33 offset:72 ; 4-byte Folded Reload
	buffer_load_dword v27, off, s[0:3], s33 offset:76 ; 4-byte Folded Reload
	;; [unrolled: 1-line block ×8, first 2 shown]
	v_add_u32_e32 v37, 0xfffffc00, v36
	v_ashrrev_i32_e32 v54, 31, v11
.LBB10_422:                             ;   in Loop: Header=BB10_329 Depth=2
	s_or_b64 exec, exec, s[78:79]
	v_lshlrev_b32_e32 v3, 10, v18
	buffer_load_dword v18, off, s[0:3], s33 offset:68 ; 4-byte Folded Reload
	v_cmp_ne_u32_e32 vcc, v16, v3
	s_and_b64 s[78:79], exec, vcc
	s_mov_b64 exec, s[78:79]
	s_cbranch_execz .LBB10_426
; %bb.423:                              ;   in Loop: Header=BB10_329 Depth=2
	v_ashrrev_i32_e32 v4, 31, v8
	v_lshrrev_b32_e32 v4, 26, v4
	v_add_u32_e32 v4, v8, v4
	v_and_b32_e32 v4, 0xffffffc0, v4
	v_sub_u32_e32 v4, v8, v4
	v_lshlrev_b32_e32 v5, 6, v17
	v_sub_u32_e32 v4, v4, v5
	v_add_u32_e32 v3, v3, v4
	v_sub_u32_e32 v8, v16, v3
	v_cmp_lt_i32_e32 vcc, 0, v8
	s_and_b64 exec, exec, vcc
	s_cbranch_execz .LBB10_426
; %bb.424:                              ;   in Loop: Header=BB10_329 Depth=2
	v_add_u32_e32 v0, v3, v0
	s_trap 2
	ds_read_b64 v[3:4], v0
	v_ashrrev_i32_e32 v16, 31, v0
	s_mov_b64 s[78:79], 0
.LBB10_425:                             ;   Parent Loop BB10_73 Depth=1
                                        ;     Parent Loop BB10_329 Depth=2
                                        ; =>    This Inner Loop Header: Depth=3
	s_waitcnt lgkmcnt(0)
	v_add_co_u32_e32 v5, vcc, v3, v0
	v_addc_co_u32_e32 v6, vcc, v4, v16, vcc
	flat_load_ubyte v7, v[5:6] glc slc
	v_add_co_u32_e32 v0, vcc, v0, v9
	s_waitcnt vmcnt(0)
	v_sub_u32_e32 v8, v8, v18
	v_addc_co_u32_e32 v16, vcc, v16, v10, vcc
	v_cmp_gt_i32_e32 vcc, 1, v8
	s_or_b64 s[78:79], vcc, s[78:79]
	s_waitcnt lgkmcnt(0)
	flat_store_byte v[5:6], v7 glc slc
	s_andn2_b64 exec, exec, s[78:79]
	s_cbranch_execnz .LBB10_425
.LBB10_426:                             ;   in Loop: Header=BB10_329 Depth=2
	s_or_b64 exec, exec, s[28:29]
	v_cmp_lt_i32_e64 s[28:29], 0, v30
	s_and_saveexec_b64 s[78:79], s[12:13]
	s_cbranch_execz .LBB10_400
.LBB10_427:                             ;   in Loop: Header=BB10_329 Depth=2
	s_and_saveexec_b64 s[88:89], s[58:59]
	s_xor_b64 s[88:89], exec, s[88:89]
	s_cbranch_execz .LBB10_442
; %bb.428:                              ;   in Loop: Header=BB10_329 Depth=2
	s_and_saveexec_b64 s[90:91], s[6:7]
	s_cbranch_execz .LBB10_441
; %bb.429:                              ;   in Loop: Header=BB10_329 Depth=2
	s_mov_b64 s[94:95], exec
	v_mbcnt_lo_u32_b32 v0, s94, 0
	v_mbcnt_hi_u32_b32 v0, s95, v0
	v_cmp_eq_u32_e32 vcc, 0, v0
	s_waitcnt vmcnt(0) lgkmcnt(0)
	buffer_wbinvl1_vol
	s_and_saveexec_b64 s[92:93], vcc
	s_cbranch_execz .LBB10_431
; %bb.430:                              ;   in Loop: Header=BB10_329 Depth=2
	s_bcnt1_i32_b64 s94, s[94:95]
	v_mov_b32_e32 v34, s94
	ds_add_u64 v0, v[34:35]
	s_trap 2
.LBB10_431:                             ;   in Loop: Header=BB10_329 Depth=2
	s_or_b64 exec, exec, s[92:93]
	s_trap 2
	ds_read_b64 v[3:4], v0
	s_waitcnt lgkmcnt(0)
	v_add_co_u32_e32 v14, vcc, v14, v62
	v_addc_co_u32_e32 v15, vcc, 0, v15, vcc
	v_cmp_lt_u64_e32 vcc, v[3:4], v[14:15]
	s_and_saveexec_b64 s[92:93], vcc
	s_cbranch_execz .LBB10_440
; %bb.432:                              ;   in Loop: Header=BB10_329 Depth=2
	s_mov_b32 s48, 0
	s_mov_b64 s[94:95], 0
                                        ; implicit-def: $sgpr30_sgpr31
                                        ; implicit-def: $sgpr34_sgpr35
	s_branch .LBB10_434
.LBB10_433:                             ;   in Loop: Header=BB10_434 Depth=3
	s_or_b64 exec, exec, s[38:39]
	s_and_b64 vcc, exec, vcc
	s_or_b64 s[94:95], vcc, s[94:95]
	s_andn2_b64 vcc, s[30:31], exec
	s_and_b64 s[30:31], s[34:35], exec
	s_or_b64 s[30:31], vcc, s[30:31]
	s_andn2_b64 exec, exec, s[94:95]
	s_cbranch_execz .LBB10_438
.LBB10_434:                             ;   Parent Loop BB10_73 Depth=1
                                        ;     Parent Loop BB10_329 Depth=2
                                        ; =>    This Inner Loop Header: Depth=3
	s_add_i32 s48, s48, 1
	s_cmpk_lg_i32 s48, 0x2710
	s_cselect_b64 s[36:37], -1, 0
	s_and_b64 vcc, exec, s[36:37]
	s_cbranch_vccz .LBB10_436
; %bb.435:                              ;   in Loop: Header=BB10_434 Depth=3
	s_mov_b64 vcc, -1
	s_or_b64 s[34:35], s[34:35], exec
	s_and_saveexec_b64 s[38:39], s[36:37]
	s_cbranch_execz .LBB10_433
	s_branch .LBB10_437
.LBB10_436:                             ;   in Loop: Header=BB10_434 Depth=3
	s_trap 2
	ds_read_b64 v[3:4], v0
	s_andn2_b64 s[36:37], s[36:37], exec
	s_mov_b32 s48, 0
	s_waitcnt lgkmcnt(0)
	flat_load_dword v0, v[3:4] glc
	s_waitcnt vmcnt(0) lgkmcnt(0)
	buffer_wbinvl1_vol
	v_cmp_eq_u32_e32 vcc, 0, v0
	s_and_b64 vcc, vcc, exec
	s_or_b64 s[36:37], s[36:37], vcc
	s_mov_b64 vcc, -1
	s_or_b64 s[34:35], s[34:35], exec
	s_and_saveexec_b64 s[38:39], s[36:37]
	s_cbranch_execz .LBB10_433
.LBB10_437:                             ;   in Loop: Header=BB10_434 Depth=3
	s_sleep 1
	s_trap 2
	ds_read_b64 v[3:4], v0
	s_waitcnt lgkmcnt(0)
	s_andn2_b64 s[34:35], s[34:35], exec
	v_cmp_ge_u64_e32 vcc, v[3:4], v[14:15]
	s_orn2_b64 vcc, vcc, exec
	s_branch .LBB10_433
.LBB10_438:                             ;   in Loop: Header=BB10_329 Depth=2
	s_or_b64 exec, exec, s[94:95]
	s_and_saveexec_b64 s[94:95], s[30:31]
	s_xor_b64 s[94:95], exec, s[94:95]
	s_cbranch_execz .LBB10_440
; %bb.439:                              ;   in Loop: Header=BB10_329 Depth=2
	ds_write_b32 v0, v46
	s_trap 2
.LBB10_440:                             ;   in Loop: Header=BB10_329 Depth=2
	s_or_b64 exec, exec, s[92:93]
	;;#ASMSTART
	s_wakeup
	;;#ASMEND
.LBB10_441:                             ;   in Loop: Header=BB10_329 Depth=2
	s_or_b64 exec, exec, s[90:91]
.LBB10_442:                             ;   in Loop: Header=BB10_329 Depth=2
	s_andn2_saveexec_b64 s[88:89], s[88:89]
	s_cbranch_execz .LBB10_444
; %bb.443:                              ;   in Loop: Header=BB10_329 Depth=2
	s_waitcnt vmcnt(0) lgkmcnt(0)
	buffer_wbinvl1_vol
	s_barrier
.LBB10_444:                             ;   in Loop: Header=BB10_329 Depth=2
	s_or_b64 exec, exec, s[88:89]
	s_or_b64 exec, exec, s[78:79]
                                        ; implicit-def: $vgpr0
	s_and_saveexec_b64 s[78:79], s[18:19]
	s_xor_b64 s[78:79], exec, s[78:79]
	s_cbranch_execnz .LBB10_401
.LBB10_445:                             ;   in Loop: Header=BB10_329 Depth=2
	s_andn2_saveexec_b64 s[28:29], s[78:79]
	s_cbranch_execz .LBB10_404
.LBB10_446:                             ;   in Loop: Header=BB10_329 Depth=2
	s_and_saveexec_b64 s[78:79], s[58:59]
	s_xor_b64 s[78:79], exec, s[78:79]
	s_cbranch_execz .LBB10_461
; %bb.447:                              ;   in Loop: Header=BB10_329 Depth=2
	s_and_saveexec_b64 s[88:89], s[6:7]
	s_cbranch_execz .LBB10_460
; %bb.448:                              ;   in Loop: Header=BB10_329 Depth=2
	s_mov_b64 s[92:93], exec
	v_mbcnt_lo_u32_b32 v0, s92, 0
	v_mbcnt_hi_u32_b32 v0, s93, v0
	v_cmp_eq_u32_e32 vcc, 0, v0
	;;#ASMSTART
	s_waitcnt lgkmcnt(0) vmcnt(0)
	;;#ASMEND
	s_and_saveexec_b64 s[90:91], vcc
	s_cbranch_execz .LBB10_450
; %bb.449:                              ;   in Loop: Header=BB10_329 Depth=2
	s_bcnt1_i32_b64 s92, s[92:93]
	v_mov_b32_e32 v34, s92
	s_waitcnt lgkmcnt(0)
	ds_add_u64 v0, v[34:35]
	s_trap 2
.LBB10_450:                             ;   in Loop: Header=BB10_329 Depth=2
	s_or_b64 exec, exec, s[90:91]
	s_trap 2
	ds_read_b64 v[3:4], v0
	s_waitcnt lgkmcnt(0)
	v_add_co_u32_e32 v14, vcc, v14, v62
	v_addc_co_u32_e32 v15, vcc, 0, v15, vcc
	v_cmp_lt_u64_e32 vcc, v[3:4], v[14:15]
	s_and_saveexec_b64 s[90:91], vcc
	s_cbranch_execz .LBB10_459
; %bb.451:                              ;   in Loop: Header=BB10_329 Depth=2
	s_mov_b32 s38, 0
	s_mov_b64 s[92:93], 0
                                        ; implicit-def: $sgpr94_sgpr95
                                        ; implicit-def: $sgpr30_sgpr31
	s_branch .LBB10_453
.LBB10_452:                             ;   in Loop: Header=BB10_453 Depth=3
	s_or_b64 exec, exec, s[36:37]
	s_and_b64 vcc, exec, vcc
	s_or_b64 s[92:93], vcc, s[92:93]
	s_andn2_b64 s[94:95], s[94:95], exec
	s_and_b64 vcc, s[30:31], exec
	s_or_b64 s[94:95], s[94:95], vcc
	s_andn2_b64 exec, exec, s[92:93]
	s_cbranch_execz .LBB10_457
.LBB10_453:                             ;   Parent Loop BB10_73 Depth=1
                                        ;     Parent Loop BB10_329 Depth=2
                                        ; =>    This Inner Loop Header: Depth=3
	s_add_i32 s38, s38, 1
	s_cmpk_lg_i32 s38, 0x2710
	s_cselect_b64 s[34:35], -1, 0
	s_and_b64 vcc, exec, s[34:35]
	s_cbranch_vccz .LBB10_455
; %bb.454:                              ;   in Loop: Header=BB10_453 Depth=3
	s_mov_b64 vcc, -1
	s_or_b64 s[30:31], s[30:31], exec
	s_and_saveexec_b64 s[36:37], s[34:35]
	s_cbranch_execz .LBB10_452
	s_branch .LBB10_456
.LBB10_455:                             ;   in Loop: Header=BB10_453 Depth=3
	s_trap 2
	ds_read_b64 v[3:4], v0
	s_andn2_b64 s[34:35], s[34:35], exec
	s_mov_b32 s38, 0
	s_waitcnt vmcnt(0) lgkmcnt(0)
	flat_load_dword v0, v[3:4] glc
	s_waitcnt vmcnt(0) lgkmcnt(0)
	buffer_wbinvl1_vol
	v_cmp_eq_u32_e32 vcc, 0, v0
	s_and_b64 vcc, vcc, exec
	s_or_b64 s[34:35], s[34:35], vcc
	s_mov_b64 vcc, -1
	s_or_b64 s[30:31], s[30:31], exec
	s_and_saveexec_b64 s[36:37], s[34:35]
	s_cbranch_execz .LBB10_452
.LBB10_456:                             ;   in Loop: Header=BB10_453 Depth=3
	s_sleep 1
	s_trap 2
	ds_read_b64 v[3:4], v0
	s_waitcnt lgkmcnt(0)
	s_andn2_b64 s[30:31], s[30:31], exec
	v_cmp_ge_u64_e32 vcc, v[3:4], v[14:15]
	s_orn2_b64 vcc, vcc, exec
	s_branch .LBB10_452
.LBB10_457:                             ;   in Loop: Header=BB10_329 Depth=2
	s_or_b64 exec, exec, s[92:93]
	s_and_saveexec_b64 s[92:93], s[94:95]
	s_xor_b64 s[92:93], exec, s[92:93]
	s_cbranch_execz .LBB10_459
; %bb.458:                              ;   in Loop: Header=BB10_329 Depth=2
	ds_write_b32 v0, v46
	s_trap 2
.LBB10_459:                             ;   in Loop: Header=BB10_329 Depth=2
	s_or_b64 exec, exec, s[90:91]
	;;#ASMSTART
	s_wakeup
	;;#ASMEND
.LBB10_460:                             ;   in Loop: Header=BB10_329 Depth=2
	s_or_b64 exec, exec, s[88:89]
.LBB10_461:                             ;   in Loop: Header=BB10_329 Depth=2
	s_andn2_saveexec_b64 s[78:79], s[78:79]
	s_cbranch_execz .LBB10_463
; %bb.462:                              ;   in Loop: Header=BB10_329 Depth=2
	;;#ASMSTART
	s_waitcnt lgkmcnt(0) vmcnt(0)
	;;#ASMEND
	s_waitcnt vmcnt(0) lgkmcnt(0)
	s_barrier
.LBB10_463:                             ;   in Loop: Header=BB10_329 Depth=2
	s_or_b64 exec, exec, s[78:79]
	v_and_b32_e32 v0, 16, v56
	s_or_b64 exec, exec, s[28:29]
	v_cmp_ne_u32_e32 vcc, 0, v0
	s_and_saveexec_b64 s[28:29], vcc
	s_cbranch_execz .LBB10_328
.LBB10_464:                             ;   in Loop: Header=BB10_329 Depth=2
	s_and_saveexec_b64 s[78:79], s[22:23]
	s_cbranch_execz .LBB10_327
; %bb.465:                              ;   in Loop: Header=BB10_329 Depth=2
	s_waitcnt vmcnt(0)
	flat_store_dword v[50:51], v46
	s_branch .LBB10_327
.LBB10_466:                             ;   in Loop: Header=BB10_73 Depth=1
	s_or_b64 exec, exec, s[74:75]
.LBB10_467:                             ;   in Loop: Header=BB10_73 Depth=1
	s_or_b64 exec, exec, s[42:43]
	v_cmp_gt_i32_e32 vcc, 2, v0
	s_and_saveexec_b64 s[42:43], vcc
	s_cbranch_execz .LBB10_539
; %bb.468:                              ;   in Loop: Header=BB10_73 Depth=1
	v_cmp_eq_u32_e64 s[76:77], 0, v0
	s_mov_b64 s[74:75], 0
	s_branch .LBB10_471
.LBB10_469:                             ;   in Loop: Header=BB10_471 Depth=2
	s_or_b64 exec, exec, s[76:77]
	v_add_co_u32_e32 v48, vcc, 2, v48
	v_addc_co_u32_e32 v49, vcc, 0, v49, vcc
	flat_store_dwordx2 v[24:25], v[48:49]
.LBB10_470:                             ;   in Loop: Header=BB10_471 Depth=2
	s_or_b64 exec, exec, s[28:29]
	v_add_u32_e32 v22, v2, v22
	s_mov_b64 s[76:77], 0
	s_andn2_b64 exec, exec, s[74:75]
	s_cbranch_execz .LBB10_538
.LBB10_471:                             ;   Parent Loop BB10_73 Depth=1
                                        ; =>  This Loop Header: Depth=2
                                        ;       Child Loop BB10_477 Depth 3
                                        ;       Child Loop BB10_501 Depth 3
	;; [unrolled: 1-line block ×3, first 2 shown]
	v_sub_u32_e32 v0, v38, v22
	v_min_i32_e32 v2, v2, v0
	v_and_b32_e32 v0, 8, v56
	v_cmp_ne_u32_e32 vcc, 0, v0
	s_and_saveexec_b64 s[78:79], vcc
	s_cbranch_execz .LBB10_493
; %bb.472:                              ;   in Loop: Header=BB10_471 Depth=2
	s_waitcnt vmcnt(0) lgkmcnt(0)
	v_add_co_u32_e32 v6, vcc, 8, v32
	v_addc_co_u32_e32 v7, vcc, 0, v33, vcc
	v_add_co_u32_e32 v4, vcc, 2, v48
	v_addc_co_u32_e32 v5, vcc, 0, v49, vcc
	v_cmp_lt_u64_e32 vcc, v[6:7], v[4:5]
	s_and_saveexec_b64 s[88:89], vcc
	s_cbranch_execz .LBB10_484
; %bb.473:                              ;   in Loop: Header=BB10_471 Depth=2
	v_and_b32_e32 v0, 64, v56
	s_mov_b32 s65, 0
	v_cmp_eq_u32_e32 vcc, 0, v0
	s_mov_b64 s[90:91], 0
                                        ; implicit-def: $sgpr92_sgpr93
                                        ; implicit-def: $sgpr94_sgpr95
                                        ; implicit-def: $sgpr30_sgpr31
	s_branch .LBB10_477
.LBB10_474:                             ;   in Loop: Header=BB10_477 Depth=3
	s_waitcnt vmcnt(0) lgkmcnt(0)
	v_add_co_u32_e64 v6, s[28:29], 8, v32
	v_addc_co_u32_e64 v7, s[28:29], 0, v33, s[28:29]
	v_cmp_ge_u64_e64 s[28:29], v[6:7], v[4:5]
	s_or_b64 s[38:39], s[38:39], exec
	s_orn2_b64 s[36:37], s[28:29], exec
.LBB10_475:                             ;   in Loop: Header=BB10_477 Depth=3
	s_or_b64 exec, exec, s[50:51]
	s_andn2_b64 s[28:29], s[30:31], exec
	s_and_b64 s[30:31], s[38:39], exec
	s_or_b64 s[30:31], s[28:29], s[30:31]
	s_andn2_b64 s[28:29], s[94:95], exec
	s_and_b64 s[94:95], s[36:37], exec
	s_or_b64 s[94:95], s[28:29], s[94:95]
.LBB10_476:                             ;   in Loop: Header=BB10_477 Depth=3
	s_or_b64 exec, exec, s[34:35]
	s_and_b64 s[28:29], exec, s[94:95]
	s_or_b64 s[90:91], s[28:29], s[90:91]
	s_andn2_b64 s[28:29], s[92:93], exec
	s_and_b64 s[92:93], s[30:31], exec
	s_or_b64 s[92:93], s[28:29], s[92:93]
	s_andn2_b64 exec, exec, s[90:91]
	s_cbranch_execz .LBB10_481
.LBB10_477:                             ;   Parent Loop BB10_73 Depth=1
                                        ;     Parent Loop BB10_471 Depth=2
                                        ; =>    This Inner Loop Header: Depth=3
	s_sleep 1
	s_waitcnt vmcnt(0) lgkmcnt(0)
	flat_load_dwordx2 v[32:33], v[24:25] glc
	s_or_b64 s[30:31], s[30:31], exec
	s_or_b64 s[94:95], s[94:95], exec
                                        ; implicit-def: $vgpr0
	s_and_saveexec_b64 s[34:35], vcc
	s_cbranch_execz .LBB10_476
; %bb.478:                              ;   in Loop: Header=BB10_477 Depth=3
	s_cmpk_lt_i32 s65, 0x270f
	s_cselect_b64 s[48:49], -1, 0
	s_cmpk_gt_i32 s65, 0x270e
	s_mov_b64 s[36:37], -1
	s_cbranch_scc0 .LBB10_480
; %bb.479:                              ;   in Loop: Header=BB10_477 Depth=3
	s_trap 2
	ds_read_b64 v[6:7], v0
	s_andn2_b64 s[48:49], s[48:49], exec
	s_mov_b32 s65, 0
	s_mov_b64 s[38:39], 0
	s_waitcnt vmcnt(0) lgkmcnt(0)
	flat_load_dword v0, v[6:7] glc
	s_waitcnt vmcnt(0) lgkmcnt(0)
	buffer_wbinvl1_vol
	v_cmp_eq_u32_e64 s[28:29], 0, v0
	s_and_b64 s[28:29], s[28:29], exec
	s_or_b64 s[48:49], s[48:49], s[28:29]
	s_and_saveexec_b64 s[50:51], s[48:49]
	s_cbranch_execz .LBB10_475
	s_branch .LBB10_474
.LBB10_480:                             ;   in Loop: Header=BB10_477 Depth=3
	s_add_i32 s65, s65, 1
	s_mov_b64 s[38:39], -1
                                        ; implicit-def: $vgpr0
	s_and_saveexec_b64 s[50:51], s[48:49]
	s_cbranch_execz .LBB10_475
	s_branch .LBB10_474
.LBB10_481:                             ;   in Loop: Header=BB10_471 Depth=2
	s_or_b64 exec, exec, s[90:91]
	s_xor_b64 s[28:29], s[92:93], -1
	s_and_saveexec_b64 s[90:91], s[28:29]
	s_xor_b64 s[28:29], exec, s[90:91]
	s_cbranch_execz .LBB10_483
; %bb.482:                              ;   in Loop: Header=BB10_471 Depth=2
	v_or_b32_e32 v56, 64, v56
	s_waitcnt lgkmcnt(0)
	ds_write_b32 v0, v0
	s_trap 2
.LBB10_483:                             ;   in Loop: Header=BB10_471 Depth=2
	s_or_b64 exec, exec, s[28:29]
.LBB10_484:                             ;   in Loop: Header=BB10_471 Depth=2
	s_or_b64 exec, exec, s[88:89]
	v_and_b32_e32 v0, 0x100, v56
	v_cmp_ne_u32_e32 vcc, 0, v0
	v_and_b32_e32 v0, 7, v48
	s_mov_b64 s[28:29], -1
	;;#ASMSTART
	s_wakeup
	;;#ASMEND
                                        ; implicit-def: $vgpr48_vgpr49
	s_and_saveexec_b64 s[88:89], vcc
	s_cbranch_execz .LBB10_488
; %bb.485:                              ;   in Loop: Header=BB10_471 Depth=2
	v_mad_u64_u32 v[52:53], s[28:29], v0, 24, v[26:27]
	v_ashrrev_i32_e32 v3, 31, v2
                                        ; implicit-def: $vgpr48_vgpr49
	flat_load_dword v6, v[52:53]
	s_nop 0
	flat_store_dwordx2 v[52:53], v[2:3] offset:8
	s_waitcnt vmcnt(0) lgkmcnt(0)
	v_cmp_ne_u32_e32 vcc, 1, v6
	v_cmp_eq_u32_e64 s[28:29], 1, v6
	s_and_saveexec_b64 s[90:91], s[28:29]
	s_cbranch_execz .LBB10_487
; %bb.486:                              ;   in Loop: Header=BB10_471 Depth=2
	flat_load_dword v48, v[52:53] offset:4 glc
	s_waitcnt vmcnt(0) lgkmcnt(0)
	v_ashrrev_i32_e32 v49, 31, v48
.LBB10_487:                             ;   in Loop: Header=BB10_471 Depth=2
	s_or_b64 exec, exec, s[90:91]
	s_orn2_b64 s[28:29], vcc, exec
.LBB10_488:                             ;   in Loop: Header=BB10_471 Depth=2
	s_or_b64 exec, exec, s[88:89]
	s_and_saveexec_b64 s[88:89], s[28:29]
; %bb.489:                              ;   in Loop: Header=BB10_471 Depth=2
	v_mad_i64_i32 v[48:49], s[28:29], v0, v61, 0
; %bb.490:                              ;   in Loop: Header=BB10_471 Depth=2
	s_or_b64 exec, exec, s[88:89]
	v_add_co_u32_e32 v6, vcc, v12, v48
	v_addc_co_u32_e32 v7, vcc, v13, v49, vcc
	ds_write_b64 v0, v[6:7] offset:784
	v_and_b32_e32 v0, 0x2000, v56
	v_cmp_ne_u32_e32 vcc, 0, v0
	s_and_saveexec_b64 s[28:29], vcc
	s_cbranch_execz .LBB10_492
; %bb.491:                              ;   in Loop: Header=BB10_471 Depth=2
	ds_read_b64 v[6:7], v0 offset:872
	s_waitcnt lgkmcnt(0)
	v_add_co_u32_e32 v6, vcc, 1, v6
	v_addc_co_u32_e32 v7, vcc, 0, v7, vcc
	ds_write_b64 v0, v[6:7] offset:872
.LBB10_492:                             ;   in Loop: Header=BB10_471 Depth=2
	s_or_b64 exec, exec, s[28:29]
	v_mov_b32_e32 v49, v5
	v_mov_b32_e32 v48, v4
.LBB10_493:                             ;   in Loop: Header=BB10_471 Depth=2
	s_or_b64 exec, exec, s[78:79]
	s_xor_b64 s[28:29], s[76:77], -1
	s_and_b64 s[28:29], exec, s[28:29]
	s_or_b64 s[74:75], s[28:29], s[74:75]
	s_and_saveexec_b64 s[28:29], s[12:13]
	s_cbranch_execz .LBB10_512
; %bb.494:                              ;   in Loop: Header=BB10_471 Depth=2
	s_and_saveexec_b64 s[76:77], s[58:59]
	s_xor_b64 s[76:77], exec, s[76:77]
	s_cbranch_execz .LBB10_509
; %bb.495:                              ;   in Loop: Header=BB10_471 Depth=2
	s_and_saveexec_b64 s[78:79], s[6:7]
	s_cbranch_execz .LBB10_508
; %bb.496:                              ;   in Loop: Header=BB10_471 Depth=2
	s_mov_b64 s[90:91], exec
	v_mbcnt_lo_u32_b32 v0, s90, 0
	v_mbcnt_hi_u32_b32 v0, s91, v0
	v_cmp_eq_u32_e32 vcc, 0, v0
	s_waitcnt vmcnt(0) lgkmcnt(0)
	buffer_wbinvl1_vol
	s_and_saveexec_b64 s[88:89], vcc
	s_cbranch_execz .LBB10_498
; %bb.497:                              ;   in Loop: Header=BB10_471 Depth=2
	s_bcnt1_i32_b64 s90, s[90:91]
	v_mov_b32_e32 v34, s90
	ds_add_u64 v0, v[34:35]
	s_trap 2
.LBB10_498:                             ;   in Loop: Header=BB10_471 Depth=2
	s_or_b64 exec, exec, s[88:89]
	s_trap 2
	ds_read_b64 v[3:4], v0
	s_waitcnt lgkmcnt(0)
	v_add_co_u32_e32 v14, vcc, v14, v62
	v_addc_co_u32_e32 v15, vcc, 0, v15, vcc
	v_cmp_lt_u64_e32 vcc, v[3:4], v[14:15]
	s_and_saveexec_b64 s[88:89], vcc
	s_cbranch_execz .LBB10_507
; %bb.499:                              ;   in Loop: Header=BB10_471 Depth=2
	s_mov_b32 s36, 0
	s_mov_b64 s[90:91], 0
                                        ; implicit-def: $sgpr92_sgpr93
                                        ; implicit-def: $sgpr94_sgpr95
	s_branch .LBB10_501
.LBB10_500:                             ;   in Loop: Header=BB10_501 Depth=3
	s_or_b64 exec, exec, s[34:35]
	s_and_b64 vcc, exec, vcc
	s_or_b64 s[90:91], vcc, s[90:91]
	s_andn2_b64 s[92:93], s[92:93], exec
	s_and_b64 vcc, s[94:95], exec
	s_or_b64 s[92:93], s[92:93], vcc
	s_andn2_b64 exec, exec, s[90:91]
	s_cbranch_execz .LBB10_505
.LBB10_501:                             ;   Parent Loop BB10_73 Depth=1
                                        ;     Parent Loop BB10_471 Depth=2
                                        ; =>    This Inner Loop Header: Depth=3
	s_add_i32 s36, s36, 1
	s_cmpk_lg_i32 s36, 0x2710
	s_cselect_b64 s[30:31], -1, 0
	s_and_b64 vcc, exec, s[30:31]
	s_cbranch_vccz .LBB10_503
; %bb.502:                              ;   in Loop: Header=BB10_501 Depth=3
	s_mov_b64 vcc, -1
	s_or_b64 s[94:95], s[94:95], exec
	s_and_saveexec_b64 s[34:35], s[30:31]
	s_cbranch_execz .LBB10_500
	s_branch .LBB10_504
.LBB10_503:                             ;   in Loop: Header=BB10_501 Depth=3
	s_trap 2
	ds_read_b64 v[3:4], v0
	s_andn2_b64 s[30:31], s[30:31], exec
	s_mov_b32 s36, 0
	s_waitcnt lgkmcnt(0)
	flat_load_dword v0, v[3:4] glc
	s_waitcnt vmcnt(0) lgkmcnt(0)
	buffer_wbinvl1_vol
	v_cmp_eq_u32_e32 vcc, 0, v0
	s_and_b64 vcc, vcc, exec
	s_or_b64 s[30:31], s[30:31], vcc
	s_mov_b64 vcc, -1
	s_or_b64 s[94:95], s[94:95], exec
	s_and_saveexec_b64 s[34:35], s[30:31]
	s_cbranch_execz .LBB10_500
.LBB10_504:                             ;   in Loop: Header=BB10_501 Depth=3
	s_sleep 1
	s_trap 2
	ds_read_b64 v[3:4], v0
	s_waitcnt lgkmcnt(0)
	s_andn2_b64 s[94:95], s[94:95], exec
	v_cmp_ge_u64_e32 vcc, v[3:4], v[14:15]
	s_orn2_b64 vcc, vcc, exec
	s_branch .LBB10_500
.LBB10_505:                             ;   in Loop: Header=BB10_471 Depth=2
	s_or_b64 exec, exec, s[90:91]
	s_and_saveexec_b64 s[90:91], s[92:93]
	s_xor_b64 s[90:91], exec, s[90:91]
	s_cbranch_execz .LBB10_507
; %bb.506:                              ;   in Loop: Header=BB10_471 Depth=2
	ds_write_b32 v0, v46
	s_trap 2
.LBB10_507:                             ;   in Loop: Header=BB10_471 Depth=2
	s_or_b64 exec, exec, s[88:89]
	;;#ASMSTART
	s_wakeup
	;;#ASMEND
.LBB10_508:                             ;   in Loop: Header=BB10_471 Depth=2
	s_or_b64 exec, exec, s[78:79]
.LBB10_509:                             ;   in Loop: Header=BB10_471 Depth=2
	s_andn2_saveexec_b64 s[76:77], s[76:77]
	s_cbranch_execz .LBB10_511
; %bb.510:                              ;   in Loop: Header=BB10_471 Depth=2
	s_waitcnt vmcnt(0) lgkmcnt(0)
	buffer_wbinvl1_vol
	s_barrier
.LBB10_511:                             ;   in Loop: Header=BB10_471 Depth=2
	s_or_b64 exec, exec, s[76:77]
.LBB10_512:                             ;   in Loop: Header=BB10_471 Depth=2
	s_or_b64 exec, exec, s[28:29]
                                        ; implicit-def: $vgpr0
	s_and_saveexec_b64 s[28:29], s[18:19]
	s_xor_b64 s[28:29], exec, s[28:29]
	s_cbranch_execz .LBB10_517
; %bb.513:                              ;   in Loop: Header=BB10_471 Depth=2
	s_trap 2
	ds_read_b32 v0, v0
	v_cmp_lt_i32_e32 vcc, 0, v2
	v_and_b32_e32 v3, 16, v56
	s_waitcnt lgkmcnt(0)
	v_readfirstlane_b32 s76, v0
	s_cmp_eq_u32 s76, 0
	s_cselect_b64 s[76:77], -1, 0
	s_and_b64 s[76:77], vcc, s[76:77]
	v_cmp_ne_u32_e32 vcc, 0, v3
	v_and_b32_e32 v0, 16, v56
	s_and_b64 s[78:79], vcc, s[76:77]
	s_and_saveexec_b64 s[76:77], s[78:79]
	s_cbranch_execz .LBB10_515
; %bb.514:                              ;   in Loop: Header=BB10_471 Depth=2
	v_mov_b32_e32 v0, 1
	s_waitcnt vmcnt(0)
	buffer_wbinvl1_vol
.LBB10_515:                             ;   in Loop: Header=BB10_471 Depth=2
	s_or_b64 exec, exec, s[76:77]
	s_andn2_saveexec_b64 s[28:29], s[28:29]
	s_cbranch_execnz .LBB10_518
.LBB10_516:                             ;   in Loop: Header=BB10_471 Depth=2
	s_or_b64 exec, exec, s[28:29]
	v_cmp_ne_u32_e32 vcc, 0, v0
	s_and_saveexec_b64 s[28:29], vcc
	s_cbranch_execz .LBB10_470
	s_branch .LBB10_536
.LBB10_517:                             ;   in Loop: Header=BB10_471 Depth=2
	s_andn2_saveexec_b64 s[28:29], s[28:29]
	s_cbranch_execz .LBB10_516
.LBB10_518:                             ;   in Loop: Header=BB10_471 Depth=2
	s_and_saveexec_b64 s[76:77], s[58:59]
	s_xor_b64 s[76:77], exec, s[76:77]
	s_cbranch_execz .LBB10_533
; %bb.519:                              ;   in Loop: Header=BB10_471 Depth=2
	s_and_saveexec_b64 s[78:79], s[6:7]
	s_cbranch_execz .LBB10_532
; %bb.520:                              ;   in Loop: Header=BB10_471 Depth=2
	s_mov_b64 s[90:91], exec
	v_mbcnt_lo_u32_b32 v0, s90, 0
	v_mbcnt_hi_u32_b32 v0, s91, v0
	v_cmp_eq_u32_e32 vcc, 0, v0
	;;#ASMSTART
	s_waitcnt lgkmcnt(0) vmcnt(0)
	;;#ASMEND
	s_and_saveexec_b64 s[88:89], vcc
	s_cbranch_execz .LBB10_522
; %bb.521:                              ;   in Loop: Header=BB10_471 Depth=2
	s_bcnt1_i32_b64 s90, s[90:91]
	v_mov_b32_e32 v34, s90
	s_waitcnt lgkmcnt(0)
	ds_add_u64 v0, v[34:35]
	s_trap 2
.LBB10_522:                             ;   in Loop: Header=BB10_471 Depth=2
	s_or_b64 exec, exec, s[88:89]
	s_trap 2
	ds_read_b64 v[3:4], v0
	s_waitcnt lgkmcnt(0)
	v_add_co_u32_e32 v14, vcc, v14, v62
	v_addc_co_u32_e32 v15, vcc, 0, v15, vcc
	v_cmp_lt_u64_e32 vcc, v[3:4], v[14:15]
	s_and_saveexec_b64 s[88:89], vcc
	s_cbranch_execz .LBB10_531
; %bb.523:                              ;   in Loop: Header=BB10_471 Depth=2
	s_mov_b32 s36, 0
	s_mov_b64 s[90:91], 0
                                        ; implicit-def: $sgpr92_sgpr93
                                        ; implicit-def: $sgpr94_sgpr95
	s_branch .LBB10_525
.LBB10_524:                             ;   in Loop: Header=BB10_525 Depth=3
	s_or_b64 exec, exec, s[34:35]
	s_and_b64 vcc, exec, vcc
	s_or_b64 s[90:91], vcc, s[90:91]
	s_andn2_b64 s[92:93], s[92:93], exec
	s_and_b64 vcc, s[94:95], exec
	s_or_b64 s[92:93], s[92:93], vcc
	s_andn2_b64 exec, exec, s[90:91]
	s_cbranch_execz .LBB10_529
.LBB10_525:                             ;   Parent Loop BB10_73 Depth=1
                                        ;     Parent Loop BB10_471 Depth=2
                                        ; =>    This Inner Loop Header: Depth=3
	s_add_i32 s36, s36, 1
	s_cmpk_lg_i32 s36, 0x2710
	s_cselect_b64 s[30:31], -1, 0
	s_and_b64 vcc, exec, s[30:31]
	s_cbranch_vccz .LBB10_527
; %bb.526:                              ;   in Loop: Header=BB10_525 Depth=3
	s_mov_b64 vcc, -1
	s_or_b64 s[94:95], s[94:95], exec
	s_and_saveexec_b64 s[34:35], s[30:31]
	s_cbranch_execz .LBB10_524
	s_branch .LBB10_528
.LBB10_527:                             ;   in Loop: Header=BB10_525 Depth=3
	s_trap 2
	ds_read_b64 v[3:4], v0
	s_andn2_b64 s[30:31], s[30:31], exec
	s_mov_b32 s36, 0
	s_waitcnt vmcnt(0) lgkmcnt(0)
	flat_load_dword v0, v[3:4] glc
	s_waitcnt vmcnt(0) lgkmcnt(0)
	buffer_wbinvl1_vol
	v_cmp_eq_u32_e32 vcc, 0, v0
	s_and_b64 vcc, vcc, exec
	s_or_b64 s[30:31], s[30:31], vcc
	s_mov_b64 vcc, -1
	s_or_b64 s[94:95], s[94:95], exec
	s_and_saveexec_b64 s[34:35], s[30:31]
	s_cbranch_execz .LBB10_524
.LBB10_528:                             ;   in Loop: Header=BB10_525 Depth=3
	s_sleep 1
	s_trap 2
	ds_read_b64 v[3:4], v0
	s_waitcnt lgkmcnt(0)
	s_andn2_b64 s[94:95], s[94:95], exec
	v_cmp_ge_u64_e32 vcc, v[3:4], v[14:15]
	s_orn2_b64 vcc, vcc, exec
	s_branch .LBB10_524
.LBB10_529:                             ;   in Loop: Header=BB10_471 Depth=2
	s_or_b64 exec, exec, s[90:91]
	s_and_saveexec_b64 s[90:91], s[92:93]
	s_xor_b64 s[90:91], exec, s[90:91]
	s_cbranch_execz .LBB10_531
; %bb.530:                              ;   in Loop: Header=BB10_471 Depth=2
	ds_write_b32 v0, v46
	s_trap 2
.LBB10_531:                             ;   in Loop: Header=BB10_471 Depth=2
	s_or_b64 exec, exec, s[88:89]
	;;#ASMSTART
	s_wakeup
	;;#ASMEND
.LBB10_532:                             ;   in Loop: Header=BB10_471 Depth=2
	s_or_b64 exec, exec, s[78:79]
.LBB10_533:                             ;   in Loop: Header=BB10_471 Depth=2
	s_andn2_saveexec_b64 s[76:77], s[76:77]
	s_cbranch_execz .LBB10_535
; %bb.534:                              ;   in Loop: Header=BB10_471 Depth=2
	;;#ASMSTART
	s_waitcnt lgkmcnt(0) vmcnt(0)
	;;#ASMEND
	s_waitcnt vmcnt(0) lgkmcnt(0)
	s_barrier
.LBB10_535:                             ;   in Loop: Header=BB10_471 Depth=2
	s_or_b64 exec, exec, s[76:77]
	v_and_b32_e32 v0, 16, v56
	s_or_b64 exec, exec, s[28:29]
	v_cmp_ne_u32_e32 vcc, 0, v0
	s_and_saveexec_b64 s[28:29], vcc
	s_cbranch_execz .LBB10_470
.LBB10_536:                             ;   in Loop: Header=BB10_471 Depth=2
	s_and_saveexec_b64 s[76:77], s[22:23]
	s_cbranch_execz .LBB10_469
; %bb.537:                              ;   in Loop: Header=BB10_471 Depth=2
	s_waitcnt vmcnt(0)
	flat_store_dword v[50:51], v46
	s_branch .LBB10_469
.LBB10_538:                             ;   in Loop: Header=BB10_73 Depth=1
	s_or_b64 exec, exec, s[74:75]
.LBB10_539:                             ;   in Loop: Header=BB10_73 Depth=1
	s_or_b64 exec, exec, s[42:43]
.LBB10_540:                             ;   in Loop: Header=BB10_73 Depth=1
	s_or_b64 exec, exec, s[40:41]
	s_andn2_b64 vcc, exec, s[62:63]
	s_cbranch_vccnz .LBB10_801
; %bb.541:                              ;   in Loop: Header=BB10_73 Depth=1
	s_mov_b32 s50, 1
.LBB10_542:                             ;   Parent Loop BB10_73 Depth=1
                                        ; =>  This Loop Header: Depth=2
                                        ;       Child Loop BB10_545 Depth 3
                                        ;         Child Loop BB10_553 Depth 4
                                        ;         Child Loop BB10_581 Depth 4
	;; [unrolled: 1-line block ×9, first 2 shown]
                                        ;           Child Loop BB10_635 Depth 5
                                        ;         Child Loop BB10_644 Depth 4
                                        ;         Child Loop BB10_649 Depth 4
                                        ;           Child Loop BB10_650 Depth 5
                                        ;         Child Loop BB10_688 Depth 4
                                        ;         Child Loop BB10_707 Depth 4
                                        ;       Child Loop BB10_725 Depth 3
                                        ;         Child Loop BB10_731 Depth 4
                                        ;         Child Loop BB10_759 Depth 4
	;; [unrolled: 1-line block ×3, first 2 shown]
	v_mov_b32_e32 v0, 0
	s_waitcnt vmcnt(0)
	v_mov_b32_e32 v52, v55
	v_mov_b32_e32 v22, 0
	s_and_saveexec_b64 s[74:75], s[26:27]
	s_cbranch_execz .LBB10_722
; %bb.543:                              ;   in Loop: Header=BB10_542 Depth=2
	buffer_load_dword v2, off, s[0:3], s33 offset:140 ; 4-byte Folded Reload
	buffer_load_dword v3, off, s[0:3], s33 offset:144 ; 4-byte Folded Reload
	s_sub_i32 s28, s52, s50
	s_ashr_i32 s29, s28, 31
	s_lshl_b64 s[28:29], s[28:29], 2
	v_mov_b32_e32 v0, s29
	v_mov_b32_e32 v5, v55
	s_mov_b32 s51, 1
	s_mov_b64 s[78:79], -1
	v_mov_b32_e32 v22, 0
	s_mov_b64 s[76:77], 0
	v_mov_b32_e32 v52, v5
	buffer_load_dword v4, off, s[0:3], s33 offset:148 ; 4-byte Folded Reload
	s_waitcnt vmcnt(0)
	v_add_co_u32_e32 v2, vcc, s28, v2
	v_addc_co_u32_e32 v3, vcc, v3, v0, vcc
	flat_load_dword v0, v[2:3]
	s_waitcnt vmcnt(0) lgkmcnt(0)
	v_ashrrev_i32_e32 v2, 31, v0
	buffer_load_dword v3, off, s[0:3], s33 offset:152 ; 4-byte Folded Reload
	buffer_load_dword v6, off, s[0:3], s33 offset:112 ; 4-byte Folded Reload
	;; [unrolled: 1-line block ×3, first 2 shown]
	s_waitcnt vmcnt(2)
	v_mul_lo_u32 v3, v3, v0
	s_waitcnt vmcnt(0)
	v_mad_u64_u32 v[54:55], s[28:29], v4, v0, v[6:7]
	v_mul_lo_u32 v0, v4, v2
	v_add3_u32 v55, v3, v55, v0
	s_branch .LBB10_545
.LBB10_544:                             ;   in Loop: Header=BB10_545 Depth=3
	s_or_b64 exec, exec, s[28:29]
	v_add_u32_e32 v22, v52, v22
	v_cmp_ge_i32_e32 vcc, v22, v38
	s_xor_b64 s[28:29], s[78:79], -1
	s_or_b64 s[28:29], s[28:29], vcc
	s_and_b64 s[28:29], exec, s[28:29]
	s_or_b64 s[76:77], s[28:29], s[76:77]
	s_mov_b64 s[78:79], 0
	v_mov_b32_e32 v0, s51
	s_mov_b32 s51, 2
	s_andn2_b64 exec, exec, s[76:77]
	s_cbranch_execz .LBB10_797
.LBB10_545:                             ;   Parent Loop BB10_73 Depth=1
                                        ;     Parent Loop BB10_542 Depth=2
                                        ; =>    This Loop Header: Depth=3
                                        ;         Child Loop BB10_553 Depth 4
                                        ;         Child Loop BB10_581 Depth 4
	;; [unrolled: 1-line block ×9, first 2 shown]
                                        ;           Child Loop BB10_635 Depth 5
                                        ;         Child Loop BB10_644 Depth 4
                                        ;         Child Loop BB10_649 Depth 4
                                        ;           Child Loop BB10_650 Depth 5
                                        ;         Child Loop BB10_688 Depth 4
                                        ;         Child Loop BB10_707 Depth 4
	s_and_saveexec_b64 s[28:29], s[4:5]
	s_cbranch_execz .LBB10_547
; %bb.546:                              ;   in Loop: Header=BB10_545 Depth=3
	s_trap 2
	ds_read_b128 v[2:5], v0
	v_ashrrev_i32_e32 v6, 31, v22
	s_waitcnt lgkmcnt(0)
	v_add_co_u32_e32 v0, vcc, v2, v54
	v_addc_co_u32_e32 v3, vcc, v3, v55, vcc
	v_add_co_u32_e32 v2, vcc, v0, v22
	v_addc_co_u32_e32 v3, vcc, v3, v6, vcc
	ds_write_b64 v0, v[2:3]
	v_add_co_u32_e32 v0, vcc, v4, v54
	v_addc_co_u32_e32 v2, vcc, v5, v55, vcc
	v_add_co_u32_e32 v0, vcc, v0, v22
	v_addc_co_u32_e32 v2, vcc, v2, v6, vcc
	v_cmp_ne_u64_e32 vcc, 0, v[4:5]
	v_cndmask_b32_e32 v3, 0, v2, vcc
	v_cndmask_b32_e32 v2, 0, v0, vcc
	ds_write_b64 v0, v[2:3]
.LBB10_547:                             ;   in Loop: Header=BB10_545 Depth=3
	s_or_b64 exec, exec, s[28:29]
	v_sub_u32_e32 v0, v38, v22
	v_min_i32_e32 v52, v52, v0
	v_and_b32_e32 v0, 12, v56
	v_cmp_ne_u32_e32 vcc, 0, v0
	s_and_saveexec_b64 s[40:41], vcc
	s_cbranch_execz .LBB10_573
; %bb.548:                              ;   in Loop: Header=BB10_545 Depth=3
	v_and_b32_e32 v0, 8, v56
	s_waitcnt vmcnt(0)
	v_add_co_u32_e32 v4, vcc, v32, v0
	v_addc_co_u32_e32 v5, vcc, 0, v33, vcc
	v_add_co_u32_e32 v2, vcc, 2, v48
	v_addc_co_u32_e32 v3, vcc, 0, v49, vcc
	v_cmp_lt_u64_e32 vcc, v[4:5], v[2:3]
	s_and_saveexec_b64 s[42:43], vcc
	s_cbranch_execz .LBB10_560
; %bb.549:                              ;   in Loop: Header=BB10_545 Depth=3
	v_and_b32_e32 v4, 64, v56
	s_mov_b32 s65, 0
	v_cmp_eq_u32_e32 vcc, 0, v4
	s_mov_b64 s[88:89], 0
                                        ; implicit-def: $sgpr90_sgpr91
                                        ; implicit-def: $sgpr92_sgpr93
                                        ; implicit-def: $sgpr94_sgpr95
	s_branch .LBB10_553
.LBB10_550:                             ;   in Loop: Header=BB10_553 Depth=4
	s_waitcnt vmcnt(0) lgkmcnt(0)
	v_add_co_u32_e64 v5, s[28:29], v32, v0
	v_addc_co_u32_e64 v6, s[28:29], 0, v33, s[28:29]
	v_cmp_ge_u64_e64 s[28:29], v[5:6], v[2:3]
	s_or_b64 s[36:37], s[36:37], exec
	s_orn2_b64 s[34:35], s[28:29], exec
.LBB10_551:                             ;   in Loop: Header=BB10_553 Depth=4
	s_or_b64 exec, exec, s[48:49]
	s_andn2_b64 s[28:29], s[94:95], exec
	s_and_b64 s[94:95], s[36:37], exec
	s_or_b64 s[94:95], s[28:29], s[94:95]
	s_andn2_b64 s[28:29], s[92:93], exec
	s_and_b64 s[92:93], s[34:35], exec
	s_or_b64 s[92:93], s[28:29], s[92:93]
.LBB10_552:                             ;   in Loop: Header=BB10_553 Depth=4
	s_or_b64 exec, exec, s[30:31]
	s_and_b64 s[28:29], exec, s[92:93]
	s_or_b64 s[88:89], s[28:29], s[88:89]
	s_andn2_b64 s[28:29], s[90:91], exec
	s_and_b64 s[90:91], s[94:95], exec
	s_or_b64 s[90:91], s[28:29], s[90:91]
	s_andn2_b64 exec, exec, s[88:89]
	s_cbranch_execz .LBB10_557
.LBB10_553:                             ;   Parent Loop BB10_73 Depth=1
                                        ;     Parent Loop BB10_542 Depth=2
                                        ;       Parent Loop BB10_545 Depth=3
                                        ; =>      This Inner Loop Header: Depth=4
	s_sleep 1
	s_waitcnt vmcnt(0) lgkmcnt(0)
	flat_load_dwordx2 v[32:33], v[24:25] glc
	s_or_b64 s[94:95], s[94:95], exec
	s_or_b64 s[92:93], s[92:93], exec
                                        ; implicit-def: $vgpr4
	s_and_saveexec_b64 s[30:31], vcc
	s_cbranch_execz .LBB10_552
; %bb.554:                              ;   in Loop: Header=BB10_553 Depth=4
	s_cmpk_lt_i32 s65, 0x270f
	s_cselect_b64 s[38:39], -1, 0
	s_cmpk_gt_i32 s65, 0x270e
	s_mov_b64 s[34:35], -1
	s_cbranch_scc0 .LBB10_556
; %bb.555:                              ;   in Loop: Header=BB10_553 Depth=4
	s_trap 2
	ds_read_b64 v[4:5], v0
	s_andn2_b64 s[38:39], s[38:39], exec
	s_mov_b32 s65, 0
	s_mov_b64 s[36:37], 0
	s_waitcnt vmcnt(0) lgkmcnt(0)
	flat_load_dword v4, v[4:5] glc
	s_waitcnt vmcnt(0) lgkmcnt(0)
	buffer_wbinvl1_vol
	v_cmp_eq_u32_e64 s[28:29], 0, v4
	s_and_b64 s[28:29], s[28:29], exec
	s_or_b64 s[38:39], s[38:39], s[28:29]
	s_and_saveexec_b64 s[48:49], s[38:39]
	s_cbranch_execz .LBB10_551
	s_branch .LBB10_550
.LBB10_556:                             ;   in Loop: Header=BB10_553 Depth=4
	s_add_i32 s65, s65, 1
	s_mov_b64 s[36:37], -1
                                        ; implicit-def: $vgpr4
	s_and_saveexec_b64 s[48:49], s[38:39]
	s_cbranch_execz .LBB10_551
	s_branch .LBB10_550
.LBB10_557:                             ;   in Loop: Header=BB10_545 Depth=3
	s_or_b64 exec, exec, s[88:89]
	s_xor_b64 s[28:29], s[90:91], -1
	s_and_saveexec_b64 s[88:89], s[28:29]
	s_xor_b64 s[28:29], exec, s[88:89]
	s_cbranch_execz .LBB10_559
; %bb.558:                              ;   in Loop: Header=BB10_545 Depth=3
	v_or_b32_e32 v56, 64, v56
	s_waitcnt lgkmcnt(0)
	ds_write_b32 v0, v4
	s_trap 2
.LBB10_559:                             ;   in Loop: Header=BB10_545 Depth=3
	s_or_b64 exec, exec, s[28:29]
.LBB10_560:                             ;   in Loop: Header=BB10_545 Depth=3
	s_or_b64 exec, exec, s[42:43]
	v_and_b32_e32 v4, 0x108, v56
	v_cmp_ne_u32_e32 vcc, s64, v4
	;;#ASMSTART
	s_wakeup
	;;#ASMEND
	s_and_saveexec_b64 s[28:29], vcc
	s_xor_b64 s[28:29], exec, s[28:29]
                                        ; implicit-def: $vgpr8
; %bb.561:                              ;   in Loop: Header=BB10_545 Depth=3
	v_and_b32_e32 v8, 7, v48
                                        ; implicit-def: $vgpr48_vgpr49
; %bb.562:                              ;   in Loop: Header=BB10_545 Depth=3
	s_andn2_saveexec_b64 s[28:29], s[28:29]
	s_cbranch_execz .LBB10_564
; %bb.563:                              ;   in Loop: Header=BB10_545 Depth=3
	v_and_b32_e32 v8, 7, v48
	v_mad_u64_u32 v[4:5], s[42:43], v8, 24, v[26:27]
	v_ashrrev_i32_e32 v53, 31, v52
	flat_store_dwordx2 v[4:5], v[52:53] offset:8
.LBB10_564:                             ;   in Loop: Header=BB10_545 Depth=3
	s_or_b64 exec, exec, s[28:29]
	v_and_b32_e32 v4, 0x100, v56
	v_cmp_ne_u32_e32 vcc, 0, v4
	s_mov_b64 s[28:29], -1
                                        ; implicit-def: $vgpr4_vgpr5
	s_and_saveexec_b64 s[42:43], vcc
	s_cbranch_execz .LBB10_568
; %bb.565:                              ;   in Loop: Header=BB10_545 Depth=3
	v_mad_u64_u32 v[48:49], s[28:29], v8, 24, v[26:27]
	v_mov_b32_e32 v4, v49
	v_mad_u64_u32 v[4:5], s[28:29], v35, 24, v[4:5]
	v_mov_b32_e32 v49, v4
	flat_load_dword v4, v[48:49]
	s_waitcnt vmcnt(0) lgkmcnt(0)
	v_cmp_ne_u32_e32 vcc, 1, v4
	v_cmp_eq_u32_e64 s[28:29], 1, v4
                                        ; implicit-def: $vgpr4_vgpr5
	s_and_saveexec_b64 s[88:89], s[28:29]
	s_cbranch_execz .LBB10_567
; %bb.566:                              ;   in Loop: Header=BB10_545 Depth=3
	flat_load_dword v4, v[48:49] offset:4 glc
	s_waitcnt vmcnt(0) lgkmcnt(0)
	v_ashrrev_i32_e32 v5, 31, v4
.LBB10_567:                             ;   in Loop: Header=BB10_545 Depth=3
	s_or_b64 exec, exec, s[88:89]
	s_orn2_b64 s[28:29], vcc, exec
.LBB10_568:                             ;   in Loop: Header=BB10_545 Depth=3
	s_or_b64 exec, exec, s[42:43]
	s_and_saveexec_b64 s[42:43], s[28:29]
	s_cbranch_execz .LBB10_570
; %bb.569:                              ;   in Loop: Header=BB10_545 Depth=3
	v_mul_lo_u32 v6, v35, v61
	v_mul_lo_u32 v7, v8, v58
	v_mad_u64_u32 v[4:5], s[28:29], v8, v61, 0
	v_add3_u32 v5, v5, v7, v6
.LBB10_570:                             ;   in Loop: Header=BB10_545 Depth=3
	s_or_b64 exec, exec, s[42:43]
	v_cmp_eq_u32_e32 vcc, 0, v0
	v_cndmask_b32_e32 v0, v47, v57, vcc
	v_add_co_u32_e32 v4, vcc, v12, v4
	v_addc_co_u32_e32 v5, vcc, v13, v5, vcc
	v_add_u32_e32 v0, v0, v0
	ds_write_b64 v0, v[4:5] offset:584
	v_and_b32_e32 v0, 0x2000, v56
	v_cmp_ne_u32_e32 vcc, 0, v0
	s_and_saveexec_b64 s[28:29], vcc
	s_cbranch_execz .LBB10_572
; %bb.571:                              ;   in Loop: Header=BB10_545 Depth=3
	ds_read_b64 v[4:5], v0 offset:872
	s_waitcnt lgkmcnt(0)
	v_add_co_u32_e32 v4, vcc, 1, v4
	v_addc_co_u32_e32 v5, vcc, 0, v5, vcc
	ds_write_b64 v0, v[4:5] offset:872
.LBB10_572:                             ;   in Loop: Header=BB10_545 Depth=3
	s_or_b64 exec, exec, s[28:29]
	v_mov_b32_e32 v49, v3
	v_mov_b32_e32 v48, v2
.LBB10_573:                             ;   in Loop: Header=BB10_545 Depth=3
	s_or_b64 exec, exec, s[40:41]
	s_and_saveexec_b64 s[28:29], s[12:13]
	s_cbranch_execz .LBB10_592
; %bb.574:                              ;   in Loop: Header=BB10_545 Depth=3
	s_and_saveexec_b64 s[40:41], s[58:59]
	s_xor_b64 s[40:41], exec, s[40:41]
	s_cbranch_execz .LBB10_589
; %bb.575:                              ;   in Loop: Header=BB10_545 Depth=3
	s_and_saveexec_b64 s[42:43], s[6:7]
	s_cbranch_execz .LBB10_588
; %bb.576:                              ;   in Loop: Header=BB10_545 Depth=3
	s_mov_b64 s[90:91], exec
	v_mbcnt_lo_u32_b32 v0, s90, 0
	v_mbcnt_hi_u32_b32 v0, s91, v0
	v_cmp_eq_u32_e32 vcc, 0, v0
	s_waitcnt vmcnt(0) lgkmcnt(0)
	buffer_wbinvl1_vol
	s_and_saveexec_b64 s[88:89], vcc
	s_cbranch_execz .LBB10_578
; %bb.577:                              ;   in Loop: Header=BB10_545 Depth=3
	s_bcnt1_i32_b64 s90, s[90:91]
	v_mov_b32_e32 v34, s90
	ds_add_u64 v0, v[34:35]
	s_trap 2
.LBB10_578:                             ;   in Loop: Header=BB10_545 Depth=3
	s_or_b64 exec, exec, s[88:89]
	s_trap 2
	ds_read_b64 v[2:3], v0
	s_waitcnt lgkmcnt(0)
	v_add_co_u32_e32 v14, vcc, v14, v62
	v_addc_co_u32_e32 v15, vcc, 0, v15, vcc
	v_cmp_lt_u64_e32 vcc, v[2:3], v[14:15]
	s_and_saveexec_b64 s[88:89], vcc
	s_cbranch_execz .LBB10_587
; %bb.579:                              ;   in Loop: Header=BB10_545 Depth=3
	s_mov_b32 s36, 0
	s_mov_b64 s[90:91], 0
                                        ; implicit-def: $sgpr92_sgpr93
                                        ; implicit-def: $sgpr94_sgpr95
	s_branch .LBB10_581
.LBB10_580:                             ;   in Loop: Header=BB10_581 Depth=4
	s_or_b64 exec, exec, s[34:35]
	s_and_b64 vcc, exec, vcc
	s_or_b64 s[90:91], vcc, s[90:91]
	s_andn2_b64 s[92:93], s[92:93], exec
	s_and_b64 vcc, s[94:95], exec
	s_or_b64 s[92:93], s[92:93], vcc
	s_andn2_b64 exec, exec, s[90:91]
	s_cbranch_execz .LBB10_585
.LBB10_581:                             ;   Parent Loop BB10_73 Depth=1
                                        ;     Parent Loop BB10_542 Depth=2
                                        ;       Parent Loop BB10_545 Depth=3
                                        ; =>      This Inner Loop Header: Depth=4
	s_add_i32 s36, s36, 1
	s_cmpk_lg_i32 s36, 0x2710
	s_cselect_b64 s[30:31], -1, 0
	s_and_b64 vcc, exec, s[30:31]
	s_cbranch_vccz .LBB10_583
; %bb.582:                              ;   in Loop: Header=BB10_581 Depth=4
	s_mov_b64 vcc, -1
	s_or_b64 s[94:95], s[94:95], exec
	s_and_saveexec_b64 s[34:35], s[30:31]
	s_cbranch_execz .LBB10_580
	s_branch .LBB10_584
.LBB10_583:                             ;   in Loop: Header=BB10_581 Depth=4
	s_trap 2
	ds_read_b64 v[2:3], v0
	s_andn2_b64 s[30:31], s[30:31], exec
	s_mov_b32 s36, 0
	s_waitcnt lgkmcnt(0)
	flat_load_dword v0, v[2:3] glc
	s_waitcnt vmcnt(0) lgkmcnt(0)
	buffer_wbinvl1_vol
	v_cmp_eq_u32_e32 vcc, 0, v0
	s_and_b64 vcc, vcc, exec
	s_or_b64 s[30:31], s[30:31], vcc
	s_mov_b64 vcc, -1
	s_or_b64 s[94:95], s[94:95], exec
	s_and_saveexec_b64 s[34:35], s[30:31]
	s_cbranch_execz .LBB10_580
.LBB10_584:                             ;   in Loop: Header=BB10_581 Depth=4
	s_sleep 1
	s_trap 2
	ds_read_b64 v[2:3], v0
	s_waitcnt lgkmcnt(0)
	s_andn2_b64 s[94:95], s[94:95], exec
	v_cmp_ge_u64_e32 vcc, v[2:3], v[14:15]
	s_orn2_b64 vcc, vcc, exec
	s_branch .LBB10_580
.LBB10_585:                             ;   in Loop: Header=BB10_545 Depth=3
	s_or_b64 exec, exec, s[90:91]
	s_and_saveexec_b64 s[90:91], s[92:93]
	s_xor_b64 s[90:91], exec, s[90:91]
	s_cbranch_execz .LBB10_587
; %bb.586:                              ;   in Loop: Header=BB10_545 Depth=3
	ds_write_b32 v0, v46
	s_trap 2
.LBB10_587:                             ;   in Loop: Header=BB10_545 Depth=3
	s_or_b64 exec, exec, s[88:89]
	;;#ASMSTART
	s_wakeup
	;;#ASMEND
.LBB10_588:                             ;   in Loop: Header=BB10_545 Depth=3
	s_or_b64 exec, exec, s[42:43]
.LBB10_589:                             ;   in Loop: Header=BB10_545 Depth=3
	s_andn2_saveexec_b64 s[40:41], s[40:41]
	s_cbranch_execz .LBB10_591
; %bb.590:                              ;   in Loop: Header=BB10_545 Depth=3
	s_waitcnt vmcnt(0) lgkmcnt(0)
	buffer_wbinvl1_vol
	s_barrier
.LBB10_591:                             ;   in Loop: Header=BB10_545 Depth=3
	s_or_b64 exec, exec, s[40:41]
.LBB10_592:                             ;   in Loop: Header=BB10_545 Depth=3
	s_or_b64 exec, exec, s[28:29]
	s_trap 2
	ds_read_b32 v0, v0
	v_and_b32_e32 v2, 0x4000, v56
	v_cmp_ne_u32_e32 vcc, 0, v2
	s_xor_b64 s[28:29], s[10:11], -1
	s_and_b64 s[40:41], s[28:29], vcc
	s_and_saveexec_b64 s[28:29], s[40:41]
	s_cbranch_execz .LBB10_611
; %bb.593:                              ;   in Loop: Header=BB10_545 Depth=3
	s_and_saveexec_b64 s[40:41], s[58:59]
	s_xor_b64 s[40:41], exec, s[40:41]
	s_cbranch_execz .LBB10_608
; %bb.594:                              ;   in Loop: Header=BB10_545 Depth=3
	s_and_saveexec_b64 s[42:43], s[6:7]
	s_cbranch_execz .LBB10_607
; %bb.595:                              ;   in Loop: Header=BB10_545 Depth=3
	s_mov_b64 s[90:91], exec
	v_mbcnt_lo_u32_b32 v2, s90, 0
	v_mbcnt_hi_u32_b32 v2, s91, v2
	v_cmp_eq_u32_e32 vcc, 0, v2
	s_waitcnt vmcnt(0) lgkmcnt(0)
	buffer_wbinvl1_vol
	s_and_saveexec_b64 s[88:89], vcc
	s_cbranch_execz .LBB10_597
; %bb.596:                              ;   in Loop: Header=BB10_545 Depth=3
	s_bcnt1_i32_b64 s90, s[90:91]
	v_mov_b32_e32 v34, s90
	ds_add_u64 v0, v[34:35]
	s_trap 2
.LBB10_597:                             ;   in Loop: Header=BB10_545 Depth=3
	s_or_b64 exec, exec, s[88:89]
	s_trap 2
	ds_read_b64 v[2:3], v0
	s_waitcnt lgkmcnt(0)
	v_add_co_u32_e32 v14, vcc, v14, v62
	v_addc_co_u32_e32 v15, vcc, 0, v15, vcc
	v_cmp_lt_u64_e32 vcc, v[2:3], v[14:15]
	s_and_saveexec_b64 s[88:89], vcc
	s_cbranch_execz .LBB10_606
; %bb.598:                              ;   in Loop: Header=BB10_545 Depth=3
	s_mov_b32 s36, 0
	s_mov_b64 s[90:91], 0
                                        ; implicit-def: $sgpr92_sgpr93
                                        ; implicit-def: $sgpr94_sgpr95
	s_branch .LBB10_600
.LBB10_599:                             ;   in Loop: Header=BB10_600 Depth=4
	s_or_b64 exec, exec, s[34:35]
	s_and_b64 vcc, exec, vcc
	s_or_b64 s[90:91], vcc, s[90:91]
	s_andn2_b64 s[92:93], s[92:93], exec
	s_and_b64 vcc, s[94:95], exec
	s_or_b64 s[92:93], s[92:93], vcc
	s_andn2_b64 exec, exec, s[90:91]
	s_cbranch_execz .LBB10_604
.LBB10_600:                             ;   Parent Loop BB10_73 Depth=1
                                        ;     Parent Loop BB10_542 Depth=2
                                        ;       Parent Loop BB10_545 Depth=3
                                        ; =>      This Inner Loop Header: Depth=4
	s_add_i32 s36, s36, 1
	s_cmpk_lg_i32 s36, 0x2710
	s_cselect_b64 s[30:31], -1, 0
	s_and_b64 vcc, exec, s[30:31]
	s_cbranch_vccz .LBB10_602
; %bb.601:                              ;   in Loop: Header=BB10_600 Depth=4
	s_mov_b64 vcc, -1
	s_or_b64 s[94:95], s[94:95], exec
	s_and_saveexec_b64 s[34:35], s[30:31]
	s_cbranch_execz .LBB10_599
	s_branch .LBB10_603
.LBB10_602:                             ;   in Loop: Header=BB10_600 Depth=4
	s_trap 2
	ds_read_b64 v[2:3], v0
	s_andn2_b64 s[30:31], s[30:31], exec
	s_mov_b32 s36, 0
	s_waitcnt lgkmcnt(0)
	flat_load_dword v2, v[2:3] glc
	s_waitcnt vmcnt(0) lgkmcnt(0)
	buffer_wbinvl1_vol
	v_cmp_eq_u32_e32 vcc, 0, v2
	s_and_b64 vcc, vcc, exec
	s_or_b64 s[30:31], s[30:31], vcc
	s_mov_b64 vcc, -1
	s_or_b64 s[94:95], s[94:95], exec
	s_and_saveexec_b64 s[34:35], s[30:31]
	s_cbranch_execz .LBB10_599
.LBB10_603:                             ;   in Loop: Header=BB10_600 Depth=4
	s_sleep 1
	s_trap 2
	ds_read_b64 v[2:3], v0
	s_waitcnt lgkmcnt(0)
	s_andn2_b64 s[94:95], s[94:95], exec
	v_cmp_ge_u64_e32 vcc, v[2:3], v[14:15]
	s_orn2_b64 vcc, vcc, exec
	s_branch .LBB10_599
.LBB10_604:                             ;   in Loop: Header=BB10_545 Depth=3
	s_or_b64 exec, exec, s[90:91]
	s_and_saveexec_b64 s[90:91], s[92:93]
	s_xor_b64 s[90:91], exec, s[90:91]
	s_cbranch_execz .LBB10_606
; %bb.605:                              ;   in Loop: Header=BB10_545 Depth=3
	ds_write_b32 v0, v46
	s_trap 2
.LBB10_606:                             ;   in Loop: Header=BB10_545 Depth=3
	s_or_b64 exec, exec, s[88:89]
	;;#ASMSTART
	s_wakeup
	;;#ASMEND
.LBB10_607:                             ;   in Loop: Header=BB10_545 Depth=3
	s_or_b64 exec, exec, s[42:43]
.LBB10_608:                             ;   in Loop: Header=BB10_545 Depth=3
	s_andn2_saveexec_b64 s[40:41], s[40:41]
	s_cbranch_execz .LBB10_610
; %bb.609:                              ;   in Loop: Header=BB10_545 Depth=3
	s_waitcnt vmcnt(0) lgkmcnt(0)
	buffer_wbinvl1_vol
	s_barrier
.LBB10_610:                             ;   in Loop: Header=BB10_545 Depth=3
	s_or_b64 exec, exec, s[40:41]
.LBB10_611:                             ;   in Loop: Header=BB10_545 Depth=3
	s_or_b64 exec, exec, s[28:29]
	s_trap 2
	s_waitcnt lgkmcnt(0)
	ds_read_b64 v[40:41], v0
	s_waitcnt lgkmcnt(0)
	v_cmp_eq_u64_e32 vcc, 0, v[40:41]
	s_cbranch_vccnz .LBB10_620
; %bb.612:                              ;   in Loop: Header=BB10_545 Depth=3
	s_trap 2
	ds_read_b64 v[42:43], v0
	s_waitcnt lgkmcnt(0)
	v_cmp_eq_u64_e32 vcc, 0, v[42:43]
	s_cbranch_vccnz .LBB10_620
; %bb.613:                              ;   in Loop: Header=BB10_545 Depth=3
	s_trap 2
	ds_read_b64 v[44:45], v0
	v_cmp_eq_u32_e64 s[28:29], 0, v0
	v_cndmask_b32_e64 v34, 0, v52, s[28:29]
	s_waitcnt lgkmcnt(0)
	v_cmp_ne_u64_e32 vcc, 0, v[44:45]
	s_cbranch_vccz .LBB10_625
; %bb.614:                              ;   in Loop: Header=BB10_545 Depth=3
	s_mov_b64 s[40:41], -1
	s_and_saveexec_b64 s[28:29], s[24:25]
	s_cbranch_execz .LBB10_616
; %bb.615:                              ;   in Loop: Header=BB10_545 Depth=3
	ds_read_b32 v0, v0 offset:720
	s_waitcnt lgkmcnt(0)
	v_and_b32_e32 v0, 15, v0
	v_cmp_eq_u32_e32 vcc, 0, v0
	s_orn2_b64 s[40:41], vcc, exec
.LBB10_616:                             ;   in Loop: Header=BB10_545 Depth=3
	s_or_b64 exec, exec, s[28:29]
	s_and_saveexec_b64 s[28:29], s[16:17]
	s_cbranch_execz .LBB10_618
; %bb.617:                              ;   in Loop: Header=BB10_545 Depth=3
	ds_read_b32 v0, v0 offset:784
	s_waitcnt lgkmcnt(0)
	v_and_b32_e32 v0, 15, v0
	v_cmp_eq_u32_e32 vcc, 0, v0
	s_and_b64 s[42:43], s[40:41], vcc
	s_andn2_b64 s[40:41], s[40:41], exec
	s_and_b64 s[42:43], s[42:43], exec
	s_or_b64 s[40:41], s[40:41], s[42:43]
.LBB10_618:                             ;   in Loop: Header=BB10_545 Depth=3
	s_or_b64 exec, exec, s[28:29]
	s_xor_b64 s[40:41], s[40:41], -1
	v_cndmask_b32_e64 v0, 0, 1, s[40:41]
	s_mov_b64 s[28:29], -1
	v_mov_b32_e32 v53, 0
	v_cmp_ne_u32_e32 vcc, 0, v0
	v_mov_b32_e32 v46, v34
	s_waitcnt vmcnt(0)
	v_mov_b32_e32 v47, v59
	v_mov_b32_e32 v2, v60
	s_cbranch_vccz .LBB10_627
; %bb.619:                              ;   in Loop: Header=BB10_545 Depth=3
	s_and_saveexec_b64 s[42:43], s[28:29]
	s_cbranch_execnz .LBB10_642
	s_branch .LBB10_652
.LBB10_620:                             ;   in Loop: Header=BB10_545 Depth=3
	s_mov_b64 s[28:29], 0
	s_and_saveexec_b64 s[40:41], s[12:13]
	s_cbranch_execnz .LBB10_681
.LBB10_621:                             ;   in Loop: Header=BB10_545 Depth=3
	s_or_b64 exec, exec, s[40:41]
                                        ; implicit-def: $vgpr0
	s_and_saveexec_b64 s[40:41], s[18:19]
	s_xor_b64 s[40:41], exec, s[40:41]
	s_cbranch_execz .LBB10_699
.LBB10_622:                             ;   in Loop: Header=BB10_545 Depth=3
	v_and_b32_e32 v2, 16, v56
	v_cmp_ne_u32_e32 vcc, 0, v2
	v_and_b32_e32 v0, 16, v56
	s_and_b64 s[42:43], vcc, s[28:29]
	s_and_saveexec_b64 s[28:29], s[42:43]
	s_cbranch_execz .LBB10_624
; %bb.623:                              ;   in Loop: Header=BB10_545 Depth=3
	v_mov_b32_e32 v0, 1
	s_waitcnt vmcnt(0) lgkmcnt(0)
	buffer_wbinvl1_vol
.LBB10_624:                             ;   in Loop: Header=BB10_545 Depth=3
	s_or_b64 exec, exec, s[28:29]
	s_andn2_saveexec_b64 s[28:29], s[40:41]
	s_cbranch_execz .LBB10_718
	s_branch .LBB10_700
.LBB10_625:                             ;   in Loop: Header=BB10_545 Depth=3
	s_cbranch_execnz .LBB10_653
.LBB10_626:                             ;   in Loop: Header=BB10_545 Depth=3
	v_cmp_lt_i32_e64 s[28:29], 0, v34
	s_and_saveexec_b64 s[40:41], s[12:13]
	s_cbranch_execnz .LBB10_681
	s_branch .LBB10_621
.LBB10_627:                             ;   in Loop: Header=BB10_545 Depth=3
	v_ashrrev_i32_e32 v0, 31, v34
	v_lshrrev_b32_e32 v0, 21, v0
	v_add_u32_e32 v0, v34, v0
	v_ashrrev_i32_e32 v0, 11, v0
	v_sub_u32_e32 v8, v0, v60
	v_cmp_lt_i32_e32 vcc, 0, v8
	s_and_saveexec_b64 s[28:29], vcc
	s_cbranch_execz .LBB10_631
; %bb.628:                              ;   in Loop: Header=BB10_545 Depth=3
	buffer_load_dword v6, off, s[0:3], s33 offset:128 ; 4-byte Folded Reload
	buffer_load_dword v7, off, s[0:3], s33 offset:132 ; 4-byte Folded Reload
	s_mov_b64 s[40:41], 0
	s_waitcnt vmcnt(0)
	v_add_co_u32_e32 v2, vcc, v40, v6
	v_addc_co_u32_e32 v3, vcc, v41, v7, vcc
	v_add_co_u32_e32 v4, vcc, v42, v6
	v_addc_co_u32_e32 v5, vcc, v43, v7, vcc
	;; [unrolled: 2-line block ×3, first 2 shown]
.LBB10_629:                             ;   Parent Loop BB10_73 Depth=1
                                        ;     Parent Loop BB10_542 Depth=2
                                        ;       Parent Loop BB10_545 Depth=3
                                        ; =>      This Inner Loop Header: Depth=4
	global_load_dwordx4 v[16:19], v[2:3], off glc slc
	global_load_dwordx4 v[26:29], v[2:3], off offset:1024 glc slc
	v_add_co_u32_e32 v2, vcc, v2, v23
	v_addc_co_u32_e32 v3, vcc, 0, v3, vcc
	v_sub_u32_e32 v8, v8, v62
	v_cmp_gt_i32_e32 vcc, 1, v8
	s_or_b64 s[40:41], vcc, s[40:41]
	s_waitcnt vmcnt(1)
	global_store_dwordx4 v[4:5], v[16:19], off glc slc
	s_waitcnt vmcnt(1)
	global_store_dwordx4 v[4:5], v[26:29], off offset:1024 glc slc
	global_store_dwordx4 v[46:47], v[16:19], off glc slc
	global_store_dwordx4 v[46:47], v[26:29], off offset:1024 glc slc
	v_add_co_u32_e32 v4, vcc, v4, v23
	v_addc_co_u32_e32 v5, vcc, 0, v5, vcc
	v_add_co_u32_e32 v46, vcc, v46, v23
	v_addc_co_u32_e32 v47, vcc, 0, v47, vcc
	s_andn2_b64 exec, exec, s[40:41]
	s_cbranch_execnz .LBB10_629
; %bb.630:                              ;   in Loop: Header=BB10_545 Depth=3
	s_or_b64 exec, exec, s[40:41]
	buffer_load_dword v26, off, s[0:3], s33 offset:72 ; 4-byte Folded Reload
	buffer_load_dword v27, off, s[0:3], s33 offset:76 ; 4-byte Folded Reload
	;; [unrolled: 1-line block ×5, first 2 shown]
.LBB10_631:                             ;   in Loop: Header=BB10_545 Depth=3
	s_or_b64 exec, exec, s[28:29]
	v_lshlrev_b32_e32 v0, 11, v0
	v_cmp_ne_u32_e32 vcc, v34, v0
	s_mov_b64 s[28:29], 0
	v_mov_b32_e32 v53, 0
                                        ; implicit-def: $vgpr46
                                        ; implicit-def: $vgpr47
                                        ; implicit-def: $vgpr2
	s_and_saveexec_b64 s[88:89], vcc
	s_cbranch_execz .LBB10_641
; %bb.632:                              ;   in Loop: Header=BB10_545 Depth=3
	buffer_load_dword v4, off, s[0:3], s33 offset:108 ; 4-byte Folded Reload
	v_lshlrev_b32_e32 v2, 6, v8
	v_sub_u32_e32 v3, v34, v0
	s_waitcnt vmcnt(0)
	v_sub_u32_e32 v2, v4, v2
	v_ashrrev_i32_e32 v4, 31, v2
	v_lshrrev_b32_e32 v4, 26, v4
	v_add_u32_e32 v4, v2, v4
	v_ashrrev_i32_e32 v5, 6, v4
	v_and_b32_e32 v4, 0xffffffc0, v4
	v_sub_u32_e32 v8, v2, v4
	v_ashrrev_i32_e32 v4, 31, v3
	v_lshrrev_b32_e32 v4, 22, v4
	v_add_u32_e32 v4, v3, v4
	v_and_b32_e32 v16, 0xfffffc00, v4
	v_lshlrev_b32_e32 v2, 4, v8
	v_sub_u32_e32 v18, v3, v16
	v_lshl_add_u32 v2, v5, 10, v2
	v_ashrrev_i32_e32 v6, 10, v4
	v_cmp_lt_i32_e64 s[28:29], 15, v18
	v_sub_u32_e32 v19, v3, v2
	v_addc_co_u32_e64 v3, vcc, 0, v6, s[28:29]
	v_sub_u32_e32 v17, v3, v5
	v_cmp_lt_i32_e32 vcc, 15, v19
	s_and_saveexec_b64 s[90:91], vcc
	s_cbranch_execz .LBB10_638
; %bb.633:                              ;   in Loop: Header=BB10_545 Depth=3
	v_add_u32_e32 v2, v2, v0
	v_ashrrev_i32_e32 v3, 31, v2
	v_add_co_u32_e32 v46, vcc, v2, v40
	v_addc_co_u32_e32 v47, vcc, v3, v41, vcc
	v_add_co_u32_e32 v20, vcc, v2, v42
	v_addc_co_u32_e32 v21, vcc, v3, v43, vcc
	v_add_co_u32_e32 v28, vcc, v2, v44
	v_addc_co_u32_e32 v29, vcc, v3, v45, vcc
	s_mov_b64 s[92:93], 0
.LBB10_634:                             ;   Parent Loop BB10_73 Depth=1
                                        ;     Parent Loop BB10_542 Depth=2
                                        ;       Parent Loop BB10_545 Depth=3
                                        ; =>      This Loop Header: Depth=4
                                        ;           Child Loop BB10_635 Depth 5
	global_load_dwordx4 v[2:5], v[46:47], off glc slc
	s_mov_b64 s[94:95], -1
	s_mov_b64 s[30:31], 0
	s_waitcnt vmcnt(0)
.LBB10_635:                             ;   Parent Loop BB10_73 Depth=1
                                        ;     Parent Loop BB10_542 Depth=2
                                        ;       Parent Loop BB10_545 Depth=3
                                        ;         Parent Loop BB10_634 Depth=4
                                        ; =>        This Inner Loop Header: Depth=5
	s_cmp_eq_u32 s30, 1
	s_cselect_b64 s[40:41], -1, 0
	v_cndmask_b32_e64 v7, v21, v29, s[40:41]
	v_cndmask_b32_e64 v6, v20, v28, s[40:41]
	global_store_dwordx4 v[6:7], v[2:5], off glc slc
	v_add_co_u32_e32 v6, vcc, 0x400, v6
	s_cmp_eq_u32 s30, 0
	v_addc_co_u32_e32 v7, vcc, 0, v7, vcc
	s_cselect_b64 vcc, -1, 0
	s_and_b64 s[42:43], exec, s[94:95]
	s_mov_b64 s[30:31], 1
	v_cndmask_b32_e64 v28, v28, v6, s[40:41]
	s_mov_b64 s[94:95], 0
	v_cndmask_b32_e64 v29, v29, v7, s[40:41]
	v_cndmask_b32_e32 v21, v21, v7, vcc
	v_cndmask_b32_e32 v20, v20, v6, vcc
	s_mov_b64 vcc, s[42:43]
	s_cbranch_vccnz .LBB10_635
; %bb.636:                              ;   in Loop: Header=BB10_634 Depth=4
	v_add_co_u32_e32 v20, vcc, v20, v37
	v_addc_co_u32_e32 v21, vcc, v21, v39, vcc
	v_add_co_u32_e32 v28, vcc, v28, v37
	v_addc_co_u32_e32 v29, vcc, v29, v39, vcc
	;; [unrolled: 2-line block ×3, first 2 shown]
	v_sub_u32_e32 v19, v19, v36
	v_cmp_gt_i32_e32 vcc, 16, v19
	s_or_b64 s[92:93], vcc, s[92:93]
	v_sub_u32_e32 v17, v17, v62
	s_andn2_b64 exec, exec, s[92:93]
	s_cbranch_execnz .LBB10_634
; %bb.637:                              ;   in Loop: Header=BB10_545 Depth=3
	s_or_b64 exec, exec, s[92:93]
	buffer_load_dword v26, off, s[0:3], s33 offset:72 ; 4-byte Folded Reload
	buffer_load_dword v27, off, s[0:3], s33 offset:76 ; 4-byte Folded Reload
	;; [unrolled: 1-line block ×4, first 2 shown]
.LBB10_638:                             ;   in Loop: Header=BB10_545 Depth=3
	s_or_b64 exec, exec, s[90:91]
	v_and_b32_e32 v3, 15, v34
	v_cndmask_b32_e64 v46, v18, v3, s[28:29]
	v_mov_b32_e32 v53, 0
	v_cmp_ne_u32_e32 vcc, 0, v46
	s_mov_b64 s[42:43], 0
                                        ; implicit-def: $vgpr47
                                        ; implicit-def: $vgpr2
	s_and_saveexec_b64 s[40:41], vcc
	s_cbranch_execz .LBB10_640
; %bb.639:                              ;   in Loop: Header=BB10_545 Depth=3
	v_sub_u32_e32 v2, v18, v3
	v_cndmask_b32_e64 v2, 0, v2, s[28:29]
	v_cmp_lt_i32_e32 vcc, 0, v17
	v_add3_u32 v53, v16, v0, v2
	v_cndmask_b32_e32 v0, 0, v62, vcc
	v_sub_u32_e32 v0, v0, v17
	v_lshl_add_u32 v47, v0, 6, v8
	v_ashrrev_i32_e32 v0, 31, v47
	v_lshrrev_b32_e32 v0, 26, v0
	v_add_u32_e32 v0, v47, v0
	v_ashrrev_i32_e32 v2, 6, v0
	s_mov_b64 s[42:43], exec
.LBB10_640:                             ;   in Loop: Header=BB10_545 Depth=3
	s_or_b64 exec, exec, s[40:41]
	buffer_load_dword v18, off, s[0:3], s33 offset:68 ; 4-byte Folded Reload
	s_and_b64 s[28:29], s[42:43], exec
.LBB10_641:                             ;   in Loop: Header=BB10_545 Depth=3
	s_or_b64 exec, exec, s[88:89]
	s_and_saveexec_b64 s[42:43], s[28:29]
	s_cbranch_execz .LBB10_652
.LBB10_642:                             ;   in Loop: Header=BB10_545 Depth=3
	v_ashrrev_i32_e32 v0, 31, v46
	v_lshrrev_b32_e32 v0, 22, v0
	v_add_u32_e32 v0, v46, v0
	v_ashrrev_i32_e32 v30, 10, v0
	v_sub_u32_e32 v57, v30, v2
	v_ashrrev_i32_e32 v0, 31, v47
	v_cmp_lt_i32_e32 vcc, 0, v57
	v_lshrrev_b32_e32 v21, 26, v0
	s_and_saveexec_b64 s[28:29], vcc
	s_cbranch_execz .LBB10_646
; %bb.643:                              ;   in Loop: Header=BB10_545 Depth=3
	v_add_u32_e32 v0, v47, v21
	v_and_b32_e32 v0, 0xffffffc0, v0
	v_sub_u32_e32 v0, v47, v0
	v_lshlrev_b32_e32 v2, 10, v2
	v_add3_u32 v0, v53, v0, v2
	v_ashrrev_i32_e32 v6, 31, v0
	v_add_co_u32_e32 v2, vcc, v0, v42
	v_addc_co_u32_e32 v3, vcc, v6, v43, vcc
	v_add_co_u32_e32 v4, vcc, v0, v44
	v_addc_co_u32_e32 v5, vcc, v6, v45, vcc
	;; [unrolled: 2-line block ×4, first 2 shown]
	s_mov_b64 s[40:41], 0
.LBB10_644:                             ;   Parent Loop BB10_73 Depth=1
                                        ;     Parent Loop BB10_542 Depth=2
                                        ;       Parent Loop BB10_545 Depth=3
                                        ; =>      This Inner Loop Header: Depth=4
	v_add_co_u32_e32 v6, vcc, 0xfffffc40, v44
	v_addc_co_u32_e32 v7, vcc, -1, v45, vcc
	flat_load_ubyte v50, v[6:7] glc slc
	v_add_co_u32_e32 v6, vcc, 0xfffffc80, v44
	v_addc_co_u32_e32 v7, vcc, -1, v45, vcc
	flat_load_ubyte v51, v[6:7] glc slc
	v_add_co_u32_e32 v6, vcc, 0xfffffcc0, v44
	v_addc_co_u32_e32 v7, vcc, -1, v45, vcc
	flat_load_ubyte v61, v[6:7] glc slc
	v_add_co_u32_e32 v6, vcc, 0xfffffd00, v44
	v_addc_co_u32_e32 v7, vcc, -1, v45, vcc
	flat_load_ubyte v16, v[6:7] glc slc
	v_add_co_u32_e32 v6, vcc, 0xfffffd40, v44
	v_addc_co_u32_e32 v7, vcc, -1, v45, vcc
	flat_load_ubyte v0, v[6:7] glc slc
	v_add_co_u32_e32 v6, vcc, 0xfffffd80, v44
	v_addc_co_u32_e32 v7, vcc, -1, v45, vcc
	flat_load_ubyte v17, v[6:7] glc slc
	v_add_co_u32_e32 v6, vcc, 0xfffffdc0, v44
	v_addc_co_u32_e32 v7, vcc, -1, v45, vcc
	flat_load_ubyte v39, v[6:7] glc slc
	v_add_co_u32_e32 v6, vcc, 0xfffffe00, v44
	v_addc_co_u32_e32 v7, vcc, -1, v45, vcc
	flat_load_ubyte v58, v[6:7] glc slc
	v_add_co_u32_e32 v6, vcc, 0xfffffe40, v44
	v_addc_co_u32_e32 v7, vcc, -1, v45, vcc
	flat_load_ubyte v20, v[6:7] glc slc
	v_add_co_u32_e32 v6, vcc, 0xfffffe80, v44
	v_addc_co_u32_e32 v7, vcc, -1, v45, vcc
	flat_load_ubyte v60, v[6:7] glc slc
	v_add_co_u32_e32 v6, vcc, 0xfffffec0, v44
	v_addc_co_u32_e32 v7, vcc, -1, v45, vcc
	flat_load_ubyte v37, v[6:7] glc slc
	v_add_co_u32_e32 v6, vcc, 0xffffff00, v44
	v_addc_co_u32_e32 v7, vcc, -1, v45, vcc
	s_waitcnt vmcnt(0)
	flat_load_ubyte v18, v[6:7] glc slc
	v_add_co_u32_e32 v6, vcc, 0xffffff40, v44
	v_addc_co_u32_e32 v7, vcc, -1, v45, vcc
	flat_load_ubyte v19, v[6:7] glc slc
	v_add_co_u32_e32 v6, vcc, 0xffffff80, v44
	v_addc_co_u32_e32 v7, vcc, -1, v45, vcc
	;; [unrolled: 3-line block ×3, first 2 shown]
	flat_load_ubyte v28, v[6:7] glc slc
	s_nop 0
	flat_load_ubyte v6, v[44:45] glc slc
	v_sub_u32_e32 v57, v57, v62
	s_waitcnt lgkmcnt(0)
	flat_store_byte v[2:3], v50 glc slc
	flat_store_byte v[2:3], v51 offset:64 glc slc
	flat_store_byte v[2:3], v61 offset:128 glc slc
	;; [unrolled: 1-line block ×10, first 2 shown]
	s_waitcnt vmcnt(0)
	flat_store_byte v[2:3], v18 offset:704 glc slc
	flat_store_byte v[2:3], v19 offset:768 glc slc
	;; [unrolled: 1-line block ×5, first 2 shown]
	flat_store_byte v[4:5], v50 glc slc
	flat_store_byte v[4:5], v51 offset:64 glc slc
	flat_store_byte v[4:5], v61 offset:128 glc slc
	;; [unrolled: 1-line block ×15, first 2 shown]
	v_add_co_u32_e32 v2, vcc, v2, v36
	v_addc_co_u32_e32 v3, vcc, 0, v3, vcc
	v_add_co_u32_e32 v4, vcc, v4, v36
	v_addc_co_u32_e32 v5, vcc, 0, v5, vcc
	;; [unrolled: 2-line block ×3, first 2 shown]
	v_cmp_gt_i32_e32 vcc, 1, v57
	s_or_b64 s[40:41], vcc, s[40:41]
	s_andn2_b64 exec, exec, s[40:41]
	s_cbranch_execnz .LBB10_644
; %bb.645:                              ;   in Loop: Header=BB10_545 Depth=3
	s_or_b64 exec, exec, s[40:41]
	buffer_load_dword v26, off, s[0:3], s33 offset:72 ; 4-byte Folded Reload
	buffer_load_dword v27, off, s[0:3], s33 offset:76 ; 4-byte Folded Reload
	;; [unrolled: 1-line block ×11, first 2 shown]
	v_add_u32_e32 v37, 0xfffffc00, v36
.LBB10_646:                             ;   in Loop: Header=BB10_545 Depth=3
	s_or_b64 exec, exec, s[28:29]
	v_lshlrev_b32_e32 v0, 10, v30
	v_cmp_ne_u32_e32 vcc, v46, v0
	s_and_b64 exec, exec, vcc
	s_cbranch_execz .LBB10_652
; %bb.647:                              ;   in Loop: Header=BB10_545 Depth=3
	v_add_u32_e32 v2, v47, v21
	v_and_b32_e32 v2, 0xffffffc0, v2
	v_sub_u32_e32 v2, v47, v2
	v_lshlrev_b32_e32 v3, 6, v57
	v_sub_u32_e32 v2, v2, v3
	v_add_u32_e32 v2, v0, v2
	v_sub_u32_e32 v0, v46, v2
	v_cmp_lt_i32_e32 vcc, 0, v0
	s_and_b64 exec, exec, vcc
	s_cbranch_execz .LBB10_652
; %bb.648:                              ;   in Loop: Header=BB10_545 Depth=3
	v_add_u32_e32 v8, v2, v53
	s_trap 2
	ds_read_b64 v[2:3], v0
	ds_read_b128 v[4:7], v0
	v_ashrrev_i32_e32 v16, 31, v8
	s_mov_b64 s[88:89], 0
	s_waitcnt lgkmcnt(0)
	v_add_co_u32_e32 v2, vcc, v2, v8
	v_addc_co_u32_e32 v3, vcc, v3, v16, vcc
	v_add_co_u32_e32 v4, vcc, v4, v8
	v_addc_co_u32_e32 v5, vcc, v5, v16, vcc
	;; [unrolled: 2-line block ×3, first 2 shown]
.LBB10_649:                             ;   Parent Loop BB10_73 Depth=1
                                        ;     Parent Loop BB10_542 Depth=2
                                        ;       Parent Loop BB10_545 Depth=3
                                        ; =>      This Loop Header: Depth=4
                                        ;           Child Loop BB10_650 Depth 5
	flat_load_ubyte v17, v[2:3] glc slc
	s_mov_b64 s[90:91], -1
	s_mov_b64 s[92:93], 0
	s_waitcnt vmcnt(0)
.LBB10_650:                             ;   Parent Loop BB10_73 Depth=1
                                        ;     Parent Loop BB10_542 Depth=2
                                        ;       Parent Loop BB10_545 Depth=3
                                        ;         Parent Loop BB10_649 Depth=4
                                        ; =>        This Inner Loop Header: Depth=5
	s_cmp_eq_u32 s92, 1
	s_cselect_b64 vcc, -1, 0
	v_cndmask_b32_e32 v7, v5, v16, vcc
	v_cndmask_b32_e32 v6, v4, v8, vcc
	s_waitcnt lgkmcnt(0)
	flat_store_byte v[6:7], v17 glc slc
	v_add_co_u32_e64 v6, s[28:29], 64, v6
	s_cmp_eq_u32 s92, 0
	v_addc_co_u32_e64 v7, s[28:29], 0, v7, s[28:29]
	s_cselect_b64 s[28:29], -1, 0
	s_and_b64 s[40:41], exec, s[90:91]
	s_mov_b64 s[92:93], 1
	s_mov_b64 s[90:91], 0
	v_cndmask_b32_e32 v16, v16, v7, vcc
	v_cndmask_b32_e32 v8, v8, v6, vcc
	v_cndmask_b32_e64 v5, v5, v7, s[28:29]
	v_cndmask_b32_e64 v4, v4, v6, s[28:29]
	s_mov_b64 vcc, s[40:41]
	s_cbranch_vccnz .LBB10_650
; %bb.651:                              ;   in Loop: Header=BB10_649 Depth=4
	buffer_load_dword v6, off, s[0:3], s33 offset:60 ; 4-byte Folded Reload
	buffer_load_dword v7, off, s[0:3], s33 offset:64 ; 4-byte Folded Reload
	v_sub_u32_e32 v0, v0, v18
	s_waitcnt vmcnt(0)
	v_add_co_u32_e32 v4, vcc, v4, v6
	v_addc_co_u32_e32 v5, vcc, v5, v7, vcc
	v_add_co_u32_e32 v8, vcc, v8, v6
	v_addc_co_u32_e32 v16, vcc, v16, v7, vcc
	v_cmp_gt_i32_e32 vcc, 1, v0
	s_or_b64 s[88:89], vcc, s[88:89]
	v_add_co_u32_e32 v2, vcc, v9, v2
	v_addc_co_u32_e32 v3, vcc, v10, v3, vcc
	s_andn2_b64 exec, exec, s[88:89]
	s_cbranch_execnz .LBB10_649
.LBB10_652:                             ;   in Loop: Header=BB10_545 Depth=3
	s_or_b64 exec, exec, s[42:43]
	v_mov_b32_e32 v46, 1
	v_mov_b32_e32 v47, 0xd0
	;; [unrolled: 1-line block ×3, first 2 shown]
	s_branch .LBB10_626
.LBB10_653:                             ;   in Loop: Header=BB10_545 Depth=3
	s_mov_b64 s[28:29], -1
	s_and_saveexec_b64 s[40:41], s[24:25]
	s_cbranch_execz .LBB10_655
; %bb.654:                              ;   in Loop: Header=BB10_545 Depth=3
	ds_read_b32 v0, v0 offset:720
	s_waitcnt lgkmcnt(0)
	v_and_b32_e32 v0, 15, v0
	v_cmp_eq_u32_e32 vcc, 0, v0
	s_orn2_b64 s[28:29], vcc, exec
.LBB10_655:                             ;   in Loop: Header=BB10_545 Depth=3
	s_or_b64 exec, exec, s[40:41]
	s_and_saveexec_b64 s[40:41], s[14:15]
	s_cbranch_execz .LBB10_657
; %bb.656:                              ;   in Loop: Header=BB10_545 Depth=3
	ds_read_b32 v0, v0 offset:784
	s_waitcnt lgkmcnt(0)
	v_and_b32_e32 v0, 15, v0
	v_cmp_eq_u32_e32 vcc, 0, v0
	s_and_b64 s[42:43], s[28:29], vcc
	s_andn2_b64 s[28:29], s[28:29], exec
	s_and_b64 s[42:43], s[42:43], exec
	s_or_b64 s[28:29], s[28:29], s[42:43]
.LBB10_657:                             ;   in Loop: Header=BB10_545 Depth=3
	s_or_b64 exec, exec, s[40:41]
	s_xor_b64 s[28:29], s[28:29], -1
	v_cndmask_b32_e64 v0, 0, 1, s[28:29]
	s_mov_b64 s[42:43], -1
	v_mov_b32_e32 v2, 0
	v_cmp_ne_u32_e32 vcc, 0, v0
	v_mov_b32_e32 v0, v34
	s_waitcnt vmcnt(0)
	v_mov_b32_e32 v3, v59
	s_waitcnt vmcnt(0)
	v_mov_b32_e32 v8, v60
	s_cbranch_vccz .LBB10_659
; %bb.658:                              ;   in Loop: Header=BB10_545 Depth=3
	s_and_saveexec_b64 s[28:29], s[42:43]
	s_cbranch_execnz .LBB10_672
	s_branch .LBB10_680
.LBB10_659:                             ;   in Loop: Header=BB10_545 Depth=3
	v_ashrrev_i32_e32 v0, 31, v34
	v_lshrrev_b32_e32 v0, 20, v0
	v_add_u32_e32 v0, v34, v0
	v_ashrrev_i32_e32 v0, 12, v0
	v_sub_u32_e32 v16, v0, v60
	v_cmp_lt_i32_e32 vcc, 0, v16
	s_and_saveexec_b64 s[28:29], vcc
	s_cbranch_execz .LBB10_663
; %bb.660:                              ;   in Loop: Header=BB10_545 Depth=3
	v_mov_b32_e32 v2, v42
	v_mov_b32_e32 v4, v40
	s_mov_b64 s[40:41], 0
	v_mov_b32_e32 v3, v43
	v_mov_b32_e32 v5, v41
	v_ashrrev_i32_e32 v8, 31, v11
	v_lshlrev_b32_e32 v21, 12, v62
.LBB10_661:                             ;   Parent Loop BB10_73 Depth=1
                                        ;     Parent Loop BB10_542 Depth=2
                                        ;       Parent Loop BB10_545 Depth=3
                                        ; =>      This Inner Loop Header: Depth=4
	v_add_co_u32_e32 v6, vcc, v11, v4
	v_addc_co_u32_e32 v7, vcc, v8, v5, vcc
	global_load_dwordx4 v[17:20], v[6:7], off glc slc
	global_load_dwordx4 v[26:29], v[6:7], off offset:1024 glc slc
	global_load_dwordx4 v[44:47], v[6:7], off offset:2048 glc slc
	;; [unrolled: 1-line block ×3, first 2 shown]
	v_add_co_u32_e32 v6, vcc, v11, v2
	v_addc_co_u32_e32 v7, vcc, v8, v3, vcc
	v_add_co_u32_e32 v4, vcc, v4, v21
	v_addc_co_u32_e32 v5, vcc, 0, v5, vcc
	v_add_co_u32_e32 v2, vcc, v2, v21
	v_sub_u32_e32 v16, v16, v62
	v_addc_co_u32_e32 v3, vcc, 0, v3, vcc
	v_cmp_gt_i32_e32 vcc, 1, v16
	s_or_b64 s[40:41], vcc, s[40:41]
	s_waitcnt vmcnt(0)
	global_store_dwordx4 v[6:7], v[17:20], off glc slc
	global_store_dwordx4 v[6:7], v[26:29], off offset:1024 glc slc
	global_store_dwordx4 v[6:7], v[44:47], off offset:2048 glc slc
	;; [unrolled: 1-line block ×3, first 2 shown]
	s_andn2_b64 exec, exec, s[40:41]
	s_cbranch_execnz .LBB10_661
; %bb.662:                              ;   in Loop: Header=BB10_545 Depth=3
	s_or_b64 exec, exec, s[40:41]
	buffer_load_dword v59, off, s[0:3], s33 offset:136 ; 4-byte Folded Reload
	buffer_load_dword v26, off, s[0:3], s33 offset:72 ; 4-byte Folded Reload
	;; [unrolled: 1-line block ×8, first 2 shown]
	v_mov_b32_e32 v46, 1
	v_mov_b32_e32 v47, 0xd0
	;; [unrolled: 1-line block ×3, first 2 shown]
.LBB10_663:                             ;   in Loop: Header=BB10_545 Depth=3
	s_or_b64 exec, exec, s[28:29]
	v_lshlrev_b32_e32 v4, 12, v0
	v_cmp_ne_u32_e32 vcc, v34, v4
	s_mov_b64 s[42:43], 0
	v_mov_b32_e32 v2, 0
                                        ; implicit-def: $vgpr0
                                        ; implicit-def: $vgpr3
                                        ; implicit-def: $vgpr8
	s_and_saveexec_b64 s[40:41], vcc
	s_cbranch_execz .LBB10_671
; %bb.664:                              ;   in Loop: Header=BB10_545 Depth=3
	buffer_load_dword v2, off, s[0:3], s33 offset:108 ; 4-byte Folded Reload
	v_lshlrev_b32_e32 v0, 6, v16
	v_sub_u32_e32 v3, v34, v4
	v_ashrrev_i32_e32 v7, 31, v3
	v_lshrrev_b32_e32 v7, 22, v7
	v_add_u32_e32 v7, v3, v7
	v_and_b32_e32 v16, 0xfffffc00, v7
	s_waitcnt vmcnt(0)
	v_sub_u32_e32 v18, v3, v16
	v_ashrrev_i32_e32 v8, 10, v7
	v_cmp_lt_i32_e32 vcc, 15, v18
	v_sub_u32_e32 v0, v2, v0
	v_ashrrev_i32_e32 v2, 31, v0
	v_lshrrev_b32_e32 v2, 26, v2
	v_add_u32_e32 v2, v0, v2
	v_ashrrev_i32_e32 v6, 6, v2
	v_and_b32_e32 v2, 0xffffffc0, v2
	v_sub_u32_e32 v5, v0, v2
	v_lshlrev_b32_e32 v0, 4, v5
	v_lshl_add_u32 v2, v6, 10, v0
	v_sub_u32_e32 v0, v3, v2
	v_addc_co_u32_e64 v3, s[28:29], 0, v8, vcc
	v_sub_u32_e32 v17, v3, v6
	v_cmp_lt_i32_e64 s[28:29], 15, v0
	s_and_saveexec_b64 s[42:43], s[28:29]
	s_cbranch_execz .LBB10_668
; %bb.665:                              ;   in Loop: Header=BB10_545 Depth=3
	v_add_u32_e32 v2, v2, v4
	v_ashrrev_i32_e32 v3, 31, v2
	s_mov_b64 s[88:89], 0
.LBB10_666:                             ;   Parent Loop BB10_73 Depth=1
                                        ;     Parent Loop BB10_542 Depth=2
                                        ;       Parent Loop BB10_545 Depth=3
                                        ; =>      This Inner Loop Header: Depth=4
	v_add_co_u32_e64 v6, s[28:29], v40, v2
	v_addc_co_u32_e64 v7, s[28:29], v41, v3, s[28:29]
	global_load_dwordx4 v[26:29], v[6:7], off glc slc
	v_add_co_u32_e64 v6, s[28:29], v42, v2
	v_addc_co_u32_e64 v7, s[28:29], v43, v3, s[28:29]
	v_add_co_u32_e64 v2, s[28:29], v2, v31
	v_sub_u32_e32 v0, v0, v36
	v_addc_co_u32_e64 v3, s[28:29], v3, v1, s[28:29]
	v_cmp_gt_i32_e64 s[28:29], 16, v0
	v_sub_u32_e32 v17, v17, v62
	s_or_b64 s[88:89], s[28:29], s[88:89]
	s_waitcnt vmcnt(0)
	global_store_dwordx4 v[6:7], v[26:29], off glc slc
	s_andn2_b64 exec, exec, s[88:89]
	s_cbranch_execnz .LBB10_666
; %bb.667:                              ;   in Loop: Header=BB10_545 Depth=3
	s_or_b64 exec, exec, s[88:89]
	buffer_load_dword v26, off, s[0:3], s33 offset:72 ; 4-byte Folded Reload
	buffer_load_dword v27, off, s[0:3], s33 offset:76 ; 4-byte Folded Reload
	buffer_load_dword v28, off, s[0:3], s33 offset:80 ; 4-byte Folded Reload
	buffer_load_dword v29, off, s[0:3], s33 offset:84 ; 4-byte Folded Reload
.LBB10_668:                             ;   in Loop: Header=BB10_545 Depth=3
	s_or_b64 exec, exec, s[42:43]
	v_and_b32_e32 v19, 15, v34
	v_cndmask_b32_e32 v0, v18, v19, vcc
	v_mov_b32_e32 v2, 0
	v_cmp_ne_u32_e64 s[28:29], 0, v0
	s_mov_b64 s[88:89], 0
                                        ; implicit-def: $vgpr3
                                        ; implicit-def: $vgpr8
	s_and_saveexec_b64 s[42:43], s[28:29]
	s_cbranch_execz .LBB10_670
; %bb.669:                              ;   in Loop: Header=BB10_545 Depth=3
	v_sub_u32_e32 v2, v18, v19
	v_cndmask_b32_e32 v2, 0, v2, vcc
	v_cmp_lt_i32_e32 vcc, 0, v17
	v_cndmask_b32_e32 v3, 0, v62, vcc
	v_sub_u32_e32 v3, v3, v17
	v_lshl_add_u32 v3, v3, 6, v5
	v_add3_u32 v2, v16, v4, v2
	v_ashrrev_i32_e32 v4, 31, v3
	v_lshrrev_b32_e32 v4, 26, v4
	v_add_u32_e32 v4, v3, v4
	v_ashrrev_i32_e32 v8, 6, v4
	s_mov_b64 s[88:89], exec
.LBB10_670:                             ;   in Loop: Header=BB10_545 Depth=3
	s_or_b64 exec, exec, s[42:43]
	buffer_load_dword v18, off, s[0:3], s33 offset:68 ; 4-byte Folded Reload
	s_and_b64 s[42:43], s[88:89], exec
.LBB10_671:                             ;   in Loop: Header=BB10_545 Depth=3
	s_or_b64 exec, exec, s[40:41]
	s_and_saveexec_b64 s[28:29], s[42:43]
	s_cbranch_execz .LBB10_680
.LBB10_672:                             ;   in Loop: Header=BB10_545 Depth=3
	v_ashrrev_i32_e32 v4, 31, v0
	v_lshrrev_b32_e32 v4, 22, v4
	v_add_u32_e32 v4, v0, v4
	v_ashrrev_i32_e32 v5, 10, v4
	v_sub_u32_e32 v4, v5, v8
	v_cmp_lt_i32_e32 vcc, 0, v4
	s_and_saveexec_b64 s[40:41], vcc
	s_cbranch_execz .LBB10_676
; %bb.673:                              ;   in Loop: Header=BB10_545 Depth=3
	v_ashrrev_i32_e32 v6, 31, v3
	v_lshrrev_b32_e32 v6, 26, v6
	v_add_u32_e32 v6, v3, v6
	v_and_b32_e32 v6, 0xffffffc0, v6
	v_sub_u32_e32 v6, v3, v6
	v_lshlrev_b32_e32 v7, 10, v8
	v_add3_u32 v8, v2, v6, v7
	v_ashrrev_i32_e32 v16, 31, v8
	s_mov_b64 s[42:43], 0
.LBB10_674:                             ;   Parent Loop BB10_73 Depth=1
                                        ;     Parent Loop BB10_542 Depth=2
                                        ;       Parent Loop BB10_545 Depth=3
                                        ; =>      This Inner Loop Header: Depth=4
	v_add_co_u32_e32 v6, vcc, v8, v40
	v_addc_co_u32_e32 v7, vcc, v16, v41, vcc
	flat_load_ubyte v17, v[6:7] glc slc
	s_waitcnt vmcnt(0)
	flat_load_ubyte v18, v[6:7] offset:64 glc slc
	flat_load_ubyte v19, v[6:7] offset:128 glc slc
	;; [unrolled: 1-line block ×15, first 2 shown]
	v_add_co_u32_e32 v6, vcc, v8, v42
	v_addc_co_u32_e32 v7, vcc, v16, v43, vcc
	v_add_co_u32_e32 v40, vcc, v40, v31
	v_addc_co_u32_e32 v41, vcc, v41, v1, vcc
	v_add_co_u32_e32 v42, vcc, v42, v31
	v_sub_u32_e32 v4, v4, v62
	v_addc_co_u32_e32 v43, vcc, v43, v1, vcc
	v_cmp_gt_i32_e32 vcc, 1, v4
	s_or_b64 s[42:43], vcc, s[42:43]
	s_waitcnt lgkmcnt(0)
	flat_store_byte v[6:7], v17 glc slc
	s_waitcnt vmcnt(0)
	flat_store_byte v[6:7], v18 offset:64 glc slc
	flat_store_byte v[6:7], v19 offset:128 glc slc
	;; [unrolled: 1-line block ×15, first 2 shown]
	s_andn2_b64 exec, exec, s[42:43]
	s_cbranch_execnz .LBB10_674
; %bb.675:                              ;   in Loop: Header=BB10_545 Depth=3
	s_or_b64 exec, exec, s[42:43]
	buffer_load_dword v26, off, s[0:3], s33 offset:72 ; 4-byte Folded Reload
	buffer_load_dword v27, off, s[0:3], s33 offset:76 ; 4-byte Folded Reload
	;; [unrolled: 1-line block ×8, first 2 shown]
	v_add_u32_e32 v37, 0xfffffc00, v36
.LBB10_676:                             ;   in Loop: Header=BB10_545 Depth=3
	s_or_b64 exec, exec, s[40:41]
	v_lshlrev_b32_e32 v5, 10, v5
	v_cmp_ne_u32_e32 vcc, v0, v5
	s_and_b64 exec, exec, vcc
	s_cbranch_execz .LBB10_680
; %bb.677:                              ;   in Loop: Header=BB10_545 Depth=3
	v_ashrrev_i32_e32 v6, 31, v3
	v_lshrrev_b32_e32 v6, 26, v6
	v_add_u32_e32 v6, v3, v6
	v_and_b32_e32 v6, 0xffffffc0, v6
	v_sub_u32_e32 v3, v3, v6
	v_lshlrev_b32_e32 v4, 6, v4
	v_sub_u32_e32 v3, v3, v4
	v_add_u32_e32 v3, v5, v3
	v_sub_u32_e32 v0, v0, v3
	v_cmp_lt_i32_e32 vcc, 0, v0
	s_and_b64 exec, exec, vcc
	s_cbranch_execz .LBB10_680
; %bb.678:                              ;   in Loop: Header=BB10_545 Depth=3
	v_add_u32_e32 v4, v3, v2
	s_trap 2
	ds_read_b64 v[2:3], v0
	v_ashrrev_i32_e32 v5, 31, v4
	s_mov_b64 s[40:41], 0
.LBB10_679:                             ;   Parent Loop BB10_73 Depth=1
                                        ;     Parent Loop BB10_542 Depth=2
                                        ;       Parent Loop BB10_545 Depth=3
                                        ; =>      This Inner Loop Header: Depth=4
	s_waitcnt lgkmcnt(0)
	v_add_co_u32_e32 v6, vcc, v2, v4
	v_addc_co_u32_e32 v7, vcc, v3, v5, vcc
	flat_load_ubyte v8, v[6:7] glc slc
	v_add_co_u32_e32 v4, vcc, v4, v9
	s_waitcnt vmcnt(0)
	v_sub_u32_e32 v0, v0, v18
	v_addc_co_u32_e32 v5, vcc, v5, v10, vcc
	v_cmp_gt_i32_e32 vcc, 1, v0
	s_or_b64 s[40:41], vcc, s[40:41]
	s_waitcnt lgkmcnt(0)
	flat_store_byte v[6:7], v8 glc slc
	s_andn2_b64 exec, exec, s[40:41]
	s_cbranch_execnz .LBB10_679
.LBB10_680:                             ;   in Loop: Header=BB10_545 Depth=3
	s_or_b64 exec, exec, s[28:29]
	v_cmp_lt_i32_e64 s[28:29], 0, v34
	s_and_saveexec_b64 s[40:41], s[12:13]
	s_cbranch_execz .LBB10_621
.LBB10_681:                             ;   in Loop: Header=BB10_545 Depth=3
	s_and_saveexec_b64 s[42:43], s[58:59]
	s_xor_b64 s[42:43], exec, s[42:43]
	s_cbranch_execz .LBB10_696
; %bb.682:                              ;   in Loop: Header=BB10_545 Depth=3
	s_and_saveexec_b64 s[88:89], s[6:7]
	s_cbranch_execz .LBB10_695
; %bb.683:                              ;   in Loop: Header=BB10_545 Depth=3
	s_mov_b64 s[92:93], exec
	v_mbcnt_lo_u32_b32 v0, s92, 0
	v_mbcnt_hi_u32_b32 v0, s93, v0
	v_cmp_eq_u32_e32 vcc, 0, v0
	s_waitcnt vmcnt(0) lgkmcnt(0)
	buffer_wbinvl1_vol
	s_and_saveexec_b64 s[90:91], vcc
	s_cbranch_execz .LBB10_685
; %bb.684:                              ;   in Loop: Header=BB10_545 Depth=3
	s_bcnt1_i32_b64 s92, s[92:93]
	v_mov_b32_e32 v34, s92
	ds_add_u64 v0, v[34:35]
	s_trap 2
.LBB10_685:                             ;   in Loop: Header=BB10_545 Depth=3
	s_or_b64 exec, exec, s[90:91]
	s_trap 2
	ds_read_b64 v[2:3], v0
	s_waitcnt lgkmcnt(0)
	v_add_co_u32_e32 v14, vcc, v14, v62
	v_addc_co_u32_e32 v15, vcc, 0, v15, vcc
	v_cmp_lt_u64_e32 vcc, v[2:3], v[14:15]
	s_and_saveexec_b64 s[90:91], vcc
	s_cbranch_execz .LBB10_694
; %bb.686:                              ;   in Loop: Header=BB10_545 Depth=3
	s_mov_b32 s38, 0
	s_mov_b64 s[92:93], 0
                                        ; implicit-def: $sgpr94_sgpr95
                                        ; implicit-def: $sgpr30_sgpr31
	s_branch .LBB10_688
.LBB10_687:                             ;   in Loop: Header=BB10_688 Depth=4
	s_or_b64 exec, exec, s[36:37]
	s_and_b64 vcc, exec, vcc
	s_or_b64 s[92:93], vcc, s[92:93]
	s_andn2_b64 s[94:95], s[94:95], exec
	s_and_b64 vcc, s[30:31], exec
	s_or_b64 s[94:95], s[94:95], vcc
	s_andn2_b64 exec, exec, s[92:93]
	s_cbranch_execz .LBB10_692
.LBB10_688:                             ;   Parent Loop BB10_73 Depth=1
                                        ;     Parent Loop BB10_542 Depth=2
                                        ;       Parent Loop BB10_545 Depth=3
                                        ; =>      This Inner Loop Header: Depth=4
	s_add_i32 s38, s38, 1
	s_cmpk_lg_i32 s38, 0x2710
	s_cselect_b64 s[34:35], -1, 0
	s_and_b64 vcc, exec, s[34:35]
	s_cbranch_vccz .LBB10_690
; %bb.689:                              ;   in Loop: Header=BB10_688 Depth=4
	s_mov_b64 vcc, -1
	s_or_b64 s[30:31], s[30:31], exec
	s_and_saveexec_b64 s[36:37], s[34:35]
	s_cbranch_execz .LBB10_687
	s_branch .LBB10_691
.LBB10_690:                             ;   in Loop: Header=BB10_688 Depth=4
	s_trap 2
	ds_read_b64 v[2:3], v0
	s_andn2_b64 s[34:35], s[34:35], exec
	s_mov_b32 s38, 0
	s_waitcnt lgkmcnt(0)
	flat_load_dword v0, v[2:3] glc
	s_waitcnt vmcnt(0) lgkmcnt(0)
	buffer_wbinvl1_vol
	v_cmp_eq_u32_e32 vcc, 0, v0
	s_and_b64 vcc, vcc, exec
	s_or_b64 s[34:35], s[34:35], vcc
	s_mov_b64 vcc, -1
	s_or_b64 s[30:31], s[30:31], exec
	s_and_saveexec_b64 s[36:37], s[34:35]
	s_cbranch_execz .LBB10_687
.LBB10_691:                             ;   in Loop: Header=BB10_688 Depth=4
	s_sleep 1
	s_trap 2
	ds_read_b64 v[2:3], v0
	s_waitcnt lgkmcnt(0)
	s_andn2_b64 s[30:31], s[30:31], exec
	v_cmp_ge_u64_e32 vcc, v[2:3], v[14:15]
	s_orn2_b64 vcc, vcc, exec
	s_branch .LBB10_687
.LBB10_692:                             ;   in Loop: Header=BB10_545 Depth=3
	s_or_b64 exec, exec, s[92:93]
	s_and_saveexec_b64 s[92:93], s[94:95]
	s_xor_b64 s[92:93], exec, s[92:93]
	s_cbranch_execz .LBB10_694
; %bb.693:                              ;   in Loop: Header=BB10_545 Depth=3
	ds_write_b32 v0, v46
	s_trap 2
.LBB10_694:                             ;   in Loop: Header=BB10_545 Depth=3
	s_or_b64 exec, exec, s[90:91]
	;;#ASMSTART
	s_wakeup
	;;#ASMEND
.LBB10_695:                             ;   in Loop: Header=BB10_545 Depth=3
	s_or_b64 exec, exec, s[88:89]
.LBB10_696:                             ;   in Loop: Header=BB10_545 Depth=3
	s_andn2_saveexec_b64 s[42:43], s[42:43]
	s_cbranch_execz .LBB10_698
; %bb.697:                              ;   in Loop: Header=BB10_545 Depth=3
	s_waitcnt vmcnt(0) lgkmcnt(0)
	buffer_wbinvl1_vol
	s_barrier
.LBB10_698:                             ;   in Loop: Header=BB10_545 Depth=3
	s_or_b64 exec, exec, s[42:43]
	s_or_b64 exec, exec, s[40:41]
                                        ; implicit-def: $vgpr0
	s_and_saveexec_b64 s[40:41], s[18:19]
	s_xor_b64 s[40:41], exec, s[40:41]
	s_cbranch_execnz .LBB10_622
.LBB10_699:                             ;   in Loop: Header=BB10_545 Depth=3
	s_andn2_saveexec_b64 s[28:29], s[40:41]
	s_cbranch_execz .LBB10_718
.LBB10_700:                             ;   in Loop: Header=BB10_545 Depth=3
	s_and_saveexec_b64 s[40:41], s[58:59]
	s_xor_b64 s[40:41], exec, s[40:41]
	s_cbranch_execz .LBB10_715
; %bb.701:                              ;   in Loop: Header=BB10_545 Depth=3
	s_and_saveexec_b64 s[42:43], s[6:7]
	s_cbranch_execz .LBB10_714
; %bb.702:                              ;   in Loop: Header=BB10_545 Depth=3
	s_mov_b64 s[90:91], exec
	v_mbcnt_lo_u32_b32 v0, s90, 0
	v_mbcnt_hi_u32_b32 v0, s91, v0
	v_cmp_eq_u32_e32 vcc, 0, v0
	;;#ASMSTART
	s_waitcnt lgkmcnt(0) vmcnt(0)
	;;#ASMEND
	s_and_saveexec_b64 s[88:89], vcc
	s_cbranch_execz .LBB10_704
; %bb.703:                              ;   in Loop: Header=BB10_545 Depth=3
	s_bcnt1_i32_b64 s90, s[90:91]
	v_mov_b32_e32 v34, s90
	s_waitcnt lgkmcnt(0)
	ds_add_u64 v0, v[34:35]
	s_trap 2
.LBB10_704:                             ;   in Loop: Header=BB10_545 Depth=3
	s_or_b64 exec, exec, s[88:89]
	s_trap 2
	ds_read_b64 v[2:3], v0
	s_waitcnt lgkmcnt(0)
	v_add_co_u32_e32 v14, vcc, v14, v62
	v_addc_co_u32_e32 v15, vcc, 0, v15, vcc
	v_cmp_lt_u64_e32 vcc, v[2:3], v[14:15]
	s_and_saveexec_b64 s[88:89], vcc
	s_cbranch_execz .LBB10_713
; %bb.705:                              ;   in Loop: Header=BB10_545 Depth=3
	s_mov_b32 s36, 0
	s_mov_b64 s[90:91], 0
                                        ; implicit-def: $sgpr92_sgpr93
                                        ; implicit-def: $sgpr94_sgpr95
	s_branch .LBB10_707
.LBB10_706:                             ;   in Loop: Header=BB10_707 Depth=4
	s_or_b64 exec, exec, s[34:35]
	s_and_b64 vcc, exec, vcc
	s_or_b64 s[90:91], vcc, s[90:91]
	s_andn2_b64 s[92:93], s[92:93], exec
	s_and_b64 vcc, s[94:95], exec
	s_or_b64 s[92:93], s[92:93], vcc
	s_andn2_b64 exec, exec, s[90:91]
	s_cbranch_execz .LBB10_711
.LBB10_707:                             ;   Parent Loop BB10_73 Depth=1
                                        ;     Parent Loop BB10_542 Depth=2
                                        ;       Parent Loop BB10_545 Depth=3
                                        ; =>      This Inner Loop Header: Depth=4
	s_add_i32 s36, s36, 1
	s_cmpk_lg_i32 s36, 0x2710
	s_cselect_b64 s[30:31], -1, 0
	s_and_b64 vcc, exec, s[30:31]
	s_cbranch_vccz .LBB10_709
; %bb.708:                              ;   in Loop: Header=BB10_707 Depth=4
	s_mov_b64 vcc, -1
	s_or_b64 s[94:95], s[94:95], exec
	s_and_saveexec_b64 s[34:35], s[30:31]
	s_cbranch_execz .LBB10_706
	s_branch .LBB10_710
.LBB10_709:                             ;   in Loop: Header=BB10_707 Depth=4
	s_trap 2
	ds_read_b64 v[2:3], v0
	s_andn2_b64 s[30:31], s[30:31], exec
	s_mov_b32 s36, 0
	s_waitcnt vmcnt(0) lgkmcnt(0)
	flat_load_dword v0, v[2:3] glc
	s_waitcnt vmcnt(0) lgkmcnt(0)
	buffer_wbinvl1_vol
	v_cmp_eq_u32_e32 vcc, 0, v0
	s_and_b64 vcc, vcc, exec
	s_or_b64 s[30:31], s[30:31], vcc
	s_mov_b64 vcc, -1
	s_or_b64 s[94:95], s[94:95], exec
	s_and_saveexec_b64 s[34:35], s[30:31]
	s_cbranch_execz .LBB10_706
.LBB10_710:                             ;   in Loop: Header=BB10_707 Depth=4
	s_sleep 1
	s_trap 2
	ds_read_b64 v[2:3], v0
	s_waitcnt lgkmcnt(0)
	s_andn2_b64 s[94:95], s[94:95], exec
	v_cmp_ge_u64_e32 vcc, v[2:3], v[14:15]
	s_orn2_b64 vcc, vcc, exec
	s_branch .LBB10_706
.LBB10_711:                             ;   in Loop: Header=BB10_545 Depth=3
	s_or_b64 exec, exec, s[90:91]
	s_and_saveexec_b64 s[90:91], s[92:93]
	s_xor_b64 s[90:91], exec, s[90:91]
	s_cbranch_execz .LBB10_713
; %bb.712:                              ;   in Loop: Header=BB10_545 Depth=3
	ds_write_b32 v0, v46
	s_trap 2
.LBB10_713:                             ;   in Loop: Header=BB10_545 Depth=3
	s_or_b64 exec, exec, s[88:89]
	;;#ASMSTART
	s_wakeup
	;;#ASMEND
.LBB10_714:                             ;   in Loop: Header=BB10_545 Depth=3
	s_or_b64 exec, exec, s[42:43]
.LBB10_715:                             ;   in Loop: Header=BB10_545 Depth=3
	s_andn2_saveexec_b64 s[40:41], s[40:41]
	s_cbranch_execz .LBB10_717
; %bb.716:                              ;   in Loop: Header=BB10_545 Depth=3
	;;#ASMSTART
	s_waitcnt lgkmcnt(0) vmcnt(0)
	;;#ASMEND
	s_waitcnt vmcnt(0) lgkmcnt(0)
	s_barrier
.LBB10_717:                             ;   in Loop: Header=BB10_545 Depth=3
	s_or_b64 exec, exec, s[40:41]
	v_and_b32_e32 v0, 16, v56
.LBB10_718:                             ;   in Loop: Header=BB10_545 Depth=3
	s_or_b64 exec, exec, s[28:29]
	v_cmp_ne_u32_e32 vcc, 0, v0
	s_xor_b64 s[28:29], s[20:21], -1
	s_and_b64 s[40:41], vcc, s[28:29]
	s_and_saveexec_b64 s[28:29], s[40:41]
	s_cbranch_execz .LBB10_720
; %bb.719:                              ;   in Loop: Header=BB10_545 Depth=3
	s_waitcnt vmcnt(0)
	flat_store_dword v[50:51], v46
.LBB10_720:                             ;   in Loop: Header=BB10_545 Depth=3
	s_or_b64 exec, exec, s[28:29]
	v_and_b32_e32 v0, 48, v56
	v_cmp_ne_u32_e32 vcc, 0, v0
	s_and_saveexec_b64 s[28:29], vcc
	s_cbranch_execz .LBB10_544
; %bb.721:                              ;   in Loop: Header=BB10_545 Depth=3
	v_add_co_u32_e32 v48, vcc, 2, v48
	v_addc_co_u32_e32 v49, vcc, 0, v49, vcc
	flat_store_dwordx2 v[24:25], v[48:49]
	s_branch .LBB10_544
.LBB10_722:                             ;   in Loop: Header=BB10_542 Depth=2
	s_or_b64 exec, exec, s[74:75]
	v_cmp_gt_i32_e32 vcc, 2, v0
	s_and_saveexec_b64 s[40:41], vcc
	s_cbranch_execz .LBB10_798
.LBB10_723:                             ;   in Loop: Header=BB10_542 Depth=2
	v_cmp_eq_u32_e64 s[74:75], 0, v0
	s_mov_b64 s[42:43], 0
	s_branch .LBB10_725
.LBB10_724:                             ;   in Loop: Header=BB10_725 Depth=3
	s_or_b64 exec, exec, s[28:29]
	v_add_u32_e32 v22, v52, v22
	s_mov_b64 s[74:75], 0
	s_andn2_b64 exec, exec, s[42:43]
	s_cbranch_execz .LBB10_799
.LBB10_725:                             ;   Parent Loop BB10_73 Depth=1
                                        ;     Parent Loop BB10_542 Depth=2
                                        ; =>    This Loop Header: Depth=3
                                        ;         Child Loop BB10_731 Depth 4
                                        ;         Child Loop BB10_759 Depth 4
	;; [unrolled: 1-line block ×3, first 2 shown]
	v_sub_u32_e32 v0, v38, v22
	v_min_i32_e32 v52, v52, v0
	v_and_b32_e32 v0, 12, v56
	v_cmp_ne_u32_e32 vcc, 0, v0
	s_and_saveexec_b64 s[76:77], vcc
	s_cbranch_execz .LBB10_751
; %bb.726:                              ;   in Loop: Header=BB10_725 Depth=3
	v_and_b32_e32 v0, 8, v56
	s_waitcnt vmcnt(0) lgkmcnt(0)
	v_add_co_u32_e32 v4, vcc, v32, v0
	v_addc_co_u32_e32 v5, vcc, 0, v33, vcc
	v_add_co_u32_e32 v2, vcc, 2, v48
	v_addc_co_u32_e32 v3, vcc, 0, v49, vcc
	v_cmp_lt_u64_e32 vcc, v[4:5], v[2:3]
	s_and_saveexec_b64 s[78:79], vcc
	s_cbranch_execz .LBB10_738
; %bb.727:                              ;   in Loop: Header=BB10_725 Depth=3
	v_and_b32_e32 v4, 64, v56
	s_mov_b32 s51, 0
	v_cmp_eq_u32_e32 vcc, 0, v4
	s_mov_b64 s[88:89], 0
                                        ; implicit-def: $sgpr90_sgpr91
                                        ; implicit-def: $sgpr92_sgpr93
                                        ; implicit-def: $sgpr94_sgpr95
	s_branch .LBB10_731
.LBB10_728:                             ;   in Loop: Header=BB10_731 Depth=4
	s_waitcnt vmcnt(0) lgkmcnt(0)
	v_add_co_u32_e64 v5, s[28:29], v32, v0
	v_addc_co_u32_e64 v6, s[28:29], 0, v33, s[28:29]
	v_cmp_ge_u64_e64 s[28:29], v[5:6], v[2:3]
	s_or_b64 s[36:37], s[36:37], exec
	s_orn2_b64 s[34:35], s[28:29], exec
.LBB10_729:                             ;   in Loop: Header=BB10_731 Depth=4
	s_or_b64 exec, exec, s[48:49]
	s_andn2_b64 s[28:29], s[94:95], exec
	s_and_b64 s[94:95], s[36:37], exec
	s_or_b64 s[94:95], s[28:29], s[94:95]
	s_andn2_b64 s[28:29], s[92:93], exec
	s_and_b64 s[92:93], s[34:35], exec
	s_or_b64 s[92:93], s[28:29], s[92:93]
.LBB10_730:                             ;   in Loop: Header=BB10_731 Depth=4
	s_or_b64 exec, exec, s[30:31]
	s_and_b64 s[28:29], exec, s[92:93]
	s_or_b64 s[88:89], s[28:29], s[88:89]
	s_andn2_b64 s[28:29], s[90:91], exec
	s_and_b64 s[90:91], s[94:95], exec
	s_or_b64 s[90:91], s[28:29], s[90:91]
	s_andn2_b64 exec, exec, s[88:89]
	s_cbranch_execz .LBB10_735
.LBB10_731:                             ;   Parent Loop BB10_73 Depth=1
                                        ;     Parent Loop BB10_542 Depth=2
                                        ;       Parent Loop BB10_725 Depth=3
                                        ; =>      This Inner Loop Header: Depth=4
	s_sleep 1
	s_waitcnt vmcnt(0) lgkmcnt(0)
	flat_load_dwordx2 v[32:33], v[24:25] glc
	s_or_b64 s[94:95], s[94:95], exec
	s_or_b64 s[92:93], s[92:93], exec
                                        ; implicit-def: $vgpr4
	s_and_saveexec_b64 s[30:31], vcc
	s_cbranch_execz .LBB10_730
; %bb.732:                              ;   in Loop: Header=BB10_731 Depth=4
	s_cmpk_lt_i32 s51, 0x270f
	s_cselect_b64 s[38:39], -1, 0
	s_cmpk_gt_i32 s51, 0x270e
	s_mov_b64 s[34:35], -1
	s_cbranch_scc0 .LBB10_734
; %bb.733:                              ;   in Loop: Header=BB10_731 Depth=4
	s_trap 2
	ds_read_b64 v[4:5], v0
	s_andn2_b64 s[38:39], s[38:39], exec
	s_mov_b32 s51, 0
	s_mov_b64 s[36:37], 0
	s_waitcnt vmcnt(0) lgkmcnt(0)
	flat_load_dword v4, v[4:5] glc
	s_waitcnt vmcnt(0) lgkmcnt(0)
	buffer_wbinvl1_vol
	v_cmp_eq_u32_e64 s[28:29], 0, v4
	s_and_b64 s[28:29], s[28:29], exec
	s_or_b64 s[38:39], s[38:39], s[28:29]
	s_and_saveexec_b64 s[48:49], s[38:39]
	s_cbranch_execz .LBB10_729
	s_branch .LBB10_728
.LBB10_734:                             ;   in Loop: Header=BB10_731 Depth=4
	s_add_i32 s51, s51, 1
	s_mov_b64 s[36:37], -1
                                        ; implicit-def: $vgpr4
	s_and_saveexec_b64 s[48:49], s[38:39]
	s_cbranch_execz .LBB10_729
	s_branch .LBB10_728
.LBB10_735:                             ;   in Loop: Header=BB10_725 Depth=3
	s_or_b64 exec, exec, s[88:89]
	s_xor_b64 s[28:29], s[90:91], -1
	s_and_saveexec_b64 s[88:89], s[28:29]
	s_xor_b64 s[28:29], exec, s[88:89]
	s_cbranch_execz .LBB10_737
; %bb.736:                              ;   in Loop: Header=BB10_725 Depth=3
	v_or_b32_e32 v56, 64, v56
	s_waitcnt lgkmcnt(0)
	ds_write_b32 v0, v4
	s_trap 2
.LBB10_737:                             ;   in Loop: Header=BB10_725 Depth=3
	s_or_b64 exec, exec, s[28:29]
.LBB10_738:                             ;   in Loop: Header=BB10_725 Depth=3
	s_or_b64 exec, exec, s[78:79]
	v_and_b32_e32 v4, 0x108, v56
	v_cmp_ne_u32_e32 vcc, s64, v4
	;;#ASMSTART
	s_wakeup
	;;#ASMEND
	s_and_saveexec_b64 s[28:29], vcc
	s_xor_b64 s[28:29], exec, s[28:29]
                                        ; implicit-def: $vgpr8
; %bb.739:                              ;   in Loop: Header=BB10_725 Depth=3
	v_and_b32_e32 v8, 7, v48
                                        ; implicit-def: $vgpr48_vgpr49
; %bb.740:                              ;   in Loop: Header=BB10_725 Depth=3
	s_andn2_saveexec_b64 s[28:29], s[28:29]
	s_cbranch_execz .LBB10_742
; %bb.741:                              ;   in Loop: Header=BB10_725 Depth=3
	v_and_b32_e32 v8, 7, v48
	v_mad_u64_u32 v[4:5], s[78:79], v8, 24, v[26:27]
	v_ashrrev_i32_e32 v53, 31, v52
	flat_store_dwordx2 v[4:5], v[52:53] offset:8
.LBB10_742:                             ;   in Loop: Header=BB10_725 Depth=3
	s_or_b64 exec, exec, s[28:29]
	v_and_b32_e32 v4, 0x100, v56
	v_cmp_ne_u32_e32 vcc, 0, v4
	s_mov_b64 s[28:29], -1
                                        ; implicit-def: $vgpr4_vgpr5
	s_and_saveexec_b64 s[78:79], vcc
	s_cbranch_execz .LBB10_746
; %bb.743:                              ;   in Loop: Header=BB10_725 Depth=3
	v_mad_u64_u32 v[48:49], s[28:29], v8, 24, v[26:27]
	v_mov_b32_e32 v4, v49
	v_mad_u64_u32 v[4:5], s[28:29], v35, 24, v[4:5]
	v_mov_b32_e32 v49, v4
	flat_load_dword v4, v[48:49]
	s_waitcnt vmcnt(0) lgkmcnt(0)
	v_cmp_ne_u32_e32 vcc, 1, v4
	v_cmp_eq_u32_e64 s[28:29], 1, v4
                                        ; implicit-def: $vgpr4_vgpr5
	s_and_saveexec_b64 s[88:89], s[28:29]
	s_cbranch_execz .LBB10_745
; %bb.744:                              ;   in Loop: Header=BB10_725 Depth=3
	flat_load_dword v4, v[48:49] offset:4 glc
	s_waitcnt vmcnt(0) lgkmcnt(0)
	v_ashrrev_i32_e32 v5, 31, v4
.LBB10_745:                             ;   in Loop: Header=BB10_725 Depth=3
	s_or_b64 exec, exec, s[88:89]
	s_orn2_b64 s[28:29], vcc, exec
.LBB10_746:                             ;   in Loop: Header=BB10_725 Depth=3
	s_or_b64 exec, exec, s[78:79]
	s_and_saveexec_b64 s[78:79], s[28:29]
	s_cbranch_execz .LBB10_748
; %bb.747:                              ;   in Loop: Header=BB10_725 Depth=3
	v_mul_lo_u32 v6, v35, v61
	v_mul_lo_u32 v7, v8, v58
	v_mad_u64_u32 v[4:5], s[28:29], v8, v61, 0
	v_add3_u32 v5, v5, v7, v6
.LBB10_748:                             ;   in Loop: Header=BB10_725 Depth=3
	s_or_b64 exec, exec, s[78:79]
	v_cmp_eq_u32_e32 vcc, 0, v0
	v_cndmask_b32_e32 v0, v47, v57, vcc
	v_add_co_u32_e32 v4, vcc, v12, v4
	v_addc_co_u32_e32 v5, vcc, v13, v5, vcc
	v_add_u32_e32 v0, v0, v0
	ds_write_b64 v0, v[4:5] offset:584
	v_and_b32_e32 v0, 0x2000, v56
	v_cmp_ne_u32_e32 vcc, 0, v0
	s_and_saveexec_b64 s[28:29], vcc
	s_cbranch_execz .LBB10_750
; %bb.749:                              ;   in Loop: Header=BB10_725 Depth=3
	ds_read_b64 v[4:5], v0 offset:872
	s_waitcnt lgkmcnt(0)
	v_add_co_u32_e32 v4, vcc, 1, v4
	v_addc_co_u32_e32 v5, vcc, 0, v5, vcc
	ds_write_b64 v0, v[4:5] offset:872
.LBB10_750:                             ;   in Loop: Header=BB10_725 Depth=3
	s_or_b64 exec, exec, s[28:29]
	v_mov_b32_e32 v49, v3
	v_mov_b32_e32 v48, v2
.LBB10_751:                             ;   in Loop: Header=BB10_725 Depth=3
	s_or_b64 exec, exec, s[76:77]
	s_xor_b64 s[28:29], s[74:75], -1
	s_and_b64 s[28:29], exec, s[28:29]
	s_or_b64 s[42:43], s[28:29], s[42:43]
	s_and_saveexec_b64 s[28:29], s[12:13]
	s_cbranch_execz .LBB10_770
; %bb.752:                              ;   in Loop: Header=BB10_725 Depth=3
	s_and_saveexec_b64 s[74:75], s[58:59]
	s_xor_b64 s[74:75], exec, s[74:75]
	s_cbranch_execz .LBB10_767
; %bb.753:                              ;   in Loop: Header=BB10_725 Depth=3
	s_and_saveexec_b64 s[76:77], s[6:7]
	s_cbranch_execz .LBB10_766
; %bb.754:                              ;   in Loop: Header=BB10_725 Depth=3
	s_mov_b64 s[88:89], exec
	v_mbcnt_lo_u32_b32 v0, s88, 0
	v_mbcnt_hi_u32_b32 v0, s89, v0
	v_cmp_eq_u32_e32 vcc, 0, v0
	s_waitcnt vmcnt(0) lgkmcnt(0)
	buffer_wbinvl1_vol
	s_and_saveexec_b64 s[78:79], vcc
	s_cbranch_execz .LBB10_756
; %bb.755:                              ;   in Loop: Header=BB10_725 Depth=3
	s_bcnt1_i32_b64 s88, s[88:89]
	v_mov_b32_e32 v34, s88
	ds_add_u64 v0, v[34:35]
	s_trap 2
.LBB10_756:                             ;   in Loop: Header=BB10_725 Depth=3
	s_or_b64 exec, exec, s[78:79]
	s_trap 2
	ds_read_b64 v[2:3], v0
	s_waitcnt lgkmcnt(0)
	v_add_co_u32_e32 v14, vcc, v14, v62
	v_addc_co_u32_e32 v15, vcc, 0, v15, vcc
	v_cmp_lt_u64_e32 vcc, v[2:3], v[14:15]
	s_and_saveexec_b64 s[78:79], vcc
	s_cbranch_execz .LBB10_765
; %bb.757:                              ;   in Loop: Header=BB10_725 Depth=3
	s_mov_b32 s34, 0
	s_mov_b64 s[88:89], 0
                                        ; implicit-def: $sgpr90_sgpr91
                                        ; implicit-def: $sgpr92_sgpr93
	s_branch .LBB10_759
.LBB10_758:                             ;   in Loop: Header=BB10_759 Depth=4
	s_or_b64 exec, exec, s[30:31]
	s_and_b64 s[94:95], exec, vcc
	s_or_b64 s[88:89], s[94:95], s[88:89]
	s_andn2_b64 s[90:91], s[90:91], exec
	s_and_b64 s[94:95], s[92:93], exec
	s_or_b64 s[90:91], s[90:91], s[94:95]
	s_andn2_b64 exec, exec, s[88:89]
	s_cbranch_execz .LBB10_763
.LBB10_759:                             ;   Parent Loop BB10_73 Depth=1
                                        ;     Parent Loop BB10_542 Depth=2
                                        ;       Parent Loop BB10_725 Depth=3
                                        ; =>      This Inner Loop Header: Depth=4
	s_add_i32 s34, s34, 1
	s_cmpk_lg_i32 s34, 0x2710
	s_cselect_b64 s[94:95], -1, 0
	s_and_b64 vcc, exec, s[94:95]
	s_cbranch_vccz .LBB10_761
; %bb.760:                              ;   in Loop: Header=BB10_759 Depth=4
	s_mov_b64 vcc, -1
	s_or_b64 s[92:93], s[92:93], exec
	s_and_saveexec_b64 s[30:31], s[94:95]
	s_cbranch_execz .LBB10_758
	s_branch .LBB10_762
.LBB10_761:                             ;   in Loop: Header=BB10_759 Depth=4
	s_trap 2
	ds_read_b64 v[2:3], v0
	s_andn2_b64 s[94:95], s[94:95], exec
	s_mov_b32 s34, 0
	s_waitcnt lgkmcnt(0)
	flat_load_dword v0, v[2:3] glc
	s_waitcnt vmcnt(0) lgkmcnt(0)
	buffer_wbinvl1_vol
	v_cmp_eq_u32_e32 vcc, 0, v0
	s_and_b64 vcc, vcc, exec
	s_or_b64 s[94:95], s[94:95], vcc
	s_mov_b64 vcc, -1
	s_or_b64 s[92:93], s[92:93], exec
	s_and_saveexec_b64 s[30:31], s[94:95]
	s_cbranch_execz .LBB10_758
.LBB10_762:                             ;   in Loop: Header=BB10_759 Depth=4
	s_sleep 1
	s_trap 2
	ds_read_b64 v[2:3], v0
	s_waitcnt lgkmcnt(0)
	s_andn2_b64 s[92:93], s[92:93], exec
	v_cmp_ge_u64_e32 vcc, v[2:3], v[14:15]
	s_orn2_b64 vcc, vcc, exec
	s_branch .LBB10_758
.LBB10_763:                             ;   in Loop: Header=BB10_725 Depth=3
	s_or_b64 exec, exec, s[88:89]
	s_and_saveexec_b64 s[88:89], s[90:91]
	s_xor_b64 s[88:89], exec, s[88:89]
	s_cbranch_execz .LBB10_765
; %bb.764:                              ;   in Loop: Header=BB10_725 Depth=3
	ds_write_b32 v0, v46
	s_trap 2
.LBB10_765:                             ;   in Loop: Header=BB10_725 Depth=3
	s_or_b64 exec, exec, s[78:79]
	;;#ASMSTART
	s_wakeup
	;;#ASMEND
.LBB10_766:                             ;   in Loop: Header=BB10_725 Depth=3
	s_or_b64 exec, exec, s[76:77]
.LBB10_767:                             ;   in Loop: Header=BB10_725 Depth=3
	s_andn2_saveexec_b64 s[74:75], s[74:75]
	s_cbranch_execz .LBB10_769
; %bb.768:                              ;   in Loop: Header=BB10_725 Depth=3
	s_waitcnt vmcnt(0) lgkmcnt(0)
	buffer_wbinvl1_vol
	s_barrier
.LBB10_769:                             ;   in Loop: Header=BB10_725 Depth=3
	s_or_b64 exec, exec, s[74:75]
.LBB10_770:                             ;   in Loop: Header=BB10_725 Depth=3
	s_or_b64 exec, exec, s[28:29]
                                        ; implicit-def: $vgpr0
	s_and_saveexec_b64 s[28:29], s[72:73]
	s_xor_b64 s[28:29], exec, s[28:29]
	s_cbranch_execz .LBB10_782
; %bb.771:                              ;   in Loop: Header=BB10_725 Depth=3
	s_and_saveexec_b64 s[74:75], s[58:59]
	s_xor_b64 s[74:75], exec, s[74:75]
	s_cbranch_execz .LBB10_787
; %bb.772:                              ;   in Loop: Header=BB10_725 Depth=3
	s_and_saveexec_b64 s[76:77], s[6:7]
	s_cbranch_execz .LBB10_786
; %bb.773:                              ;   in Loop: Header=BB10_725 Depth=3
	s_mov_b64 s[88:89], exec
	v_mbcnt_lo_u32_b32 v0, s88, 0
	v_mbcnt_hi_u32_b32 v0, s89, v0
	v_cmp_eq_u32_e32 vcc, 0, v0
	;;#ASMSTART
	s_waitcnt lgkmcnt(0) vmcnt(0)
	;;#ASMEND
	s_and_saveexec_b64 s[78:79], vcc
	s_cbranch_execz .LBB10_775
; %bb.774:                              ;   in Loop: Header=BB10_725 Depth=3
	s_bcnt1_i32_b64 s88, s[88:89]
	v_mov_b32_e32 v34, s88
	s_waitcnt lgkmcnt(0)
	ds_add_u64 v0, v[34:35]
	s_trap 2
.LBB10_775:                             ;   in Loop: Header=BB10_725 Depth=3
	s_or_b64 exec, exec, s[78:79]
	s_trap 2
	ds_read_b64 v[2:3], v0
	s_waitcnt lgkmcnt(0)
	v_add_co_u32_e32 v14, vcc, v14, v62
	v_addc_co_u32_e32 v15, vcc, 0, v15, vcc
	v_cmp_lt_u64_e32 vcc, v[2:3], v[14:15]
	s_and_saveexec_b64 s[78:79], vcc
	s_cbranch_execz .LBB10_785
; %bb.776:                              ;   in Loop: Header=BB10_725 Depth=3
	s_mov_b32 s34, 0
	s_mov_b64 s[88:89], 0
                                        ; implicit-def: $sgpr90_sgpr91
                                        ; implicit-def: $sgpr92_sgpr93
	s_branch .LBB10_778
.LBB10_777:                             ;   in Loop: Header=BB10_778 Depth=4
	s_or_b64 exec, exec, s[30:31]
	s_and_b64 s[94:95], exec, vcc
	s_or_b64 s[88:89], s[94:95], s[88:89]
	s_andn2_b64 s[90:91], s[90:91], exec
	s_and_b64 s[94:95], s[92:93], exec
	s_or_b64 s[90:91], s[90:91], s[94:95]
	s_andn2_b64 exec, exec, s[88:89]
	s_cbranch_execz .LBB10_783
.LBB10_778:                             ;   Parent Loop BB10_73 Depth=1
                                        ;     Parent Loop BB10_542 Depth=2
                                        ;       Parent Loop BB10_725 Depth=3
                                        ; =>      This Inner Loop Header: Depth=4
	s_add_i32 s34, s34, 1
	s_cmpk_lg_i32 s34, 0x2710
	s_cselect_b64 s[94:95], -1, 0
	s_and_b64 vcc, exec, s[94:95]
	s_cbranch_vccz .LBB10_780
; %bb.779:                              ;   in Loop: Header=BB10_778 Depth=4
	s_mov_b64 vcc, -1
	s_or_b64 s[92:93], s[92:93], exec
	s_and_saveexec_b64 s[30:31], s[94:95]
	s_cbranch_execz .LBB10_777
	s_branch .LBB10_781
.LBB10_780:                             ;   in Loop: Header=BB10_778 Depth=4
	s_trap 2
	ds_read_b64 v[2:3], v0
	s_andn2_b64 s[94:95], s[94:95], exec
	s_mov_b32 s34, 0
	s_waitcnt vmcnt(0) lgkmcnt(0)
	flat_load_dword v0, v[2:3] glc
	s_waitcnt vmcnt(0) lgkmcnt(0)
	buffer_wbinvl1_vol
	v_cmp_eq_u32_e32 vcc, 0, v0
	s_and_b64 vcc, vcc, exec
	s_or_b64 s[94:95], s[94:95], vcc
	s_mov_b64 vcc, -1
	s_or_b64 s[92:93], s[92:93], exec
	s_and_saveexec_b64 s[30:31], s[94:95]
	s_cbranch_execz .LBB10_777
.LBB10_781:                             ;   in Loop: Header=BB10_778 Depth=4
	s_sleep 1
	s_trap 2
	ds_read_b64 v[2:3], v0
	s_waitcnt lgkmcnt(0)
	s_andn2_b64 s[92:93], s[92:93], exec
	v_cmp_ge_u64_e32 vcc, v[2:3], v[14:15]
	s_orn2_b64 vcc, vcc, exec
	s_branch .LBB10_777
.LBB10_782:                             ;   in Loop: Header=BB10_725 Depth=3
	s_andn2_saveexec_b64 s[28:29], s[28:29]
	s_cbranch_execnz .LBB10_790
	s_branch .LBB10_793
.LBB10_783:                             ;   in Loop: Header=BB10_725 Depth=3
	s_or_b64 exec, exec, s[88:89]
	s_and_saveexec_b64 s[88:89], s[90:91]
	s_xor_b64 s[88:89], exec, s[88:89]
	s_cbranch_execz .LBB10_785
; %bb.784:                              ;   in Loop: Header=BB10_725 Depth=3
	ds_write_b32 v0, v46
	s_trap 2
.LBB10_785:                             ;   in Loop: Header=BB10_725 Depth=3
	s_or_b64 exec, exec, s[78:79]
	;;#ASMSTART
	s_wakeup
	;;#ASMEND
.LBB10_786:                             ;   in Loop: Header=BB10_725 Depth=3
	s_or_b64 exec, exec, s[76:77]
.LBB10_787:                             ;   in Loop: Header=BB10_725 Depth=3
	s_andn2_saveexec_b64 s[74:75], s[74:75]
	s_cbranch_execz .LBB10_789
; %bb.788:                              ;   in Loop: Header=BB10_725 Depth=3
	;;#ASMSTART
	s_waitcnt lgkmcnt(0) vmcnt(0)
	;;#ASMEND
	s_waitcnt vmcnt(0) lgkmcnt(0)
	s_barrier
.LBB10_789:                             ;   in Loop: Header=BB10_725 Depth=3
	s_or_b64 exec, exec, s[74:75]
	v_and_b32_e32 v0, 16, v56
	s_andn2_saveexec_b64 s[28:29], s[28:29]
	s_cbranch_execz .LBB10_793
.LBB10_790:                             ;   in Loop: Header=BB10_725 Depth=3
	s_trap 2
	ds_read_b32 v0, v0
	v_cmp_lt_i32_e32 vcc, 0, v52
	v_and_b32_e32 v2, 16, v56
	s_waitcnt lgkmcnt(0)
	v_readfirstlane_b32 s74, v0
	s_cmp_eq_u32 s74, 0
	s_cselect_b64 s[74:75], -1, 0
	s_and_b64 s[74:75], vcc, s[74:75]
	v_cmp_ne_u32_e32 vcc, 0, v2
	v_and_b32_e32 v0, 16, v56
	s_and_b64 s[76:77], vcc, s[74:75]
	s_and_saveexec_b64 s[74:75], s[76:77]
	s_cbranch_execz .LBB10_792
; %bb.791:                              ;   in Loop: Header=BB10_725 Depth=3
	v_mov_b32_e32 v0, 1
	s_waitcnt vmcnt(0)
	buffer_wbinvl1_vol
.LBB10_792:                             ;   in Loop: Header=BB10_725 Depth=3
	s_or_b64 exec, exec, s[74:75]
.LBB10_793:                             ;   in Loop: Header=BB10_725 Depth=3
	s_or_b64 exec, exec, s[28:29]
	v_cmp_ne_u32_e32 vcc, 0, v0
	s_xor_b64 s[28:29], s[20:21], -1
	s_and_b64 s[74:75], vcc, s[28:29]
	s_and_saveexec_b64 s[28:29], s[74:75]
	s_cbranch_execz .LBB10_795
; %bb.794:                              ;   in Loop: Header=BB10_725 Depth=3
	s_waitcnt vmcnt(0)
	flat_store_dword v[50:51], v46
.LBB10_795:                             ;   in Loop: Header=BB10_725 Depth=3
	s_or_b64 exec, exec, s[28:29]
	v_and_b32_e32 v0, 48, v56
	v_cmp_ne_u32_e32 vcc, 0, v0
	s_and_saveexec_b64 s[28:29], vcc
	s_cbranch_execz .LBB10_724
; %bb.796:                              ;   in Loop: Header=BB10_725 Depth=3
	v_add_co_u32_e32 v48, vcc, 2, v48
	v_addc_co_u32_e32 v49, vcc, 0, v49, vcc
	flat_store_dwordx2 v[24:25], v[48:49]
	s_branch .LBB10_724
.LBB10_797:                             ;   in Loop: Header=BB10_542 Depth=2
	s_or_b64 exec, exec, s[76:77]
	buffer_load_dword v55, off, s[0:3], s33 offset:124 ; 4-byte Folded Reload
	v_ashrrev_i32_e32 v54, 31, v11
	s_or_b64 exec, exec, s[74:75]
	v_cmp_gt_i32_e32 vcc, 2, v0
	s_and_saveexec_b64 s[40:41], vcc
	s_cbranch_execnz .LBB10_723
.LBB10_798:                             ;   in Loop: Header=BB10_542 Depth=2
	s_or_b64 exec, exec, s[40:41]
	s_add_i32 s28, s50, 1
	s_cmp_eq_u32 s50, s55
	s_cbranch_scc0 .LBB10_800
	s_branch .LBB10_801
.LBB10_799:                             ;   in Loop: Header=BB10_542 Depth=2
	s_or_b64 exec, exec, s[42:43]
	s_or_b64 exec, exec, s[40:41]
	s_add_i32 s28, s50, 1
	s_cmp_eq_u32 s50, s55
	s_cbranch_scc1 .LBB10_801
.LBB10_800:                             ;   in Loop: Header=BB10_542 Depth=2
	s_mov_b32 s50, s28
	s_branch .LBB10_542
.LBB10_801:                             ;   in Loop: Header=BB10_73 Depth=1
	v_mov_b32_e32 v0, 0
	v_mov_b32_e32 v22, 0
	s_and_saveexec_b64 s[28:29], s[26:27]
	s_cbranch_execz .LBB10_941
; %bb.802:                              ;   in Loop: Header=BB10_73 Depth=1
	buffer_load_dword v2, off, s[0:3], s33 offset:140 ; 4-byte Folded Reload
	buffer_load_dword v3, off, s[0:3], s33 offset:144 ; 4-byte Folded Reload
	s_mov_b32 s48, 1
	s_mov_b64 s[42:43], -1
	v_mov_b32_e32 v22, 0
	s_mov_b64 s[40:41], 0
	s_waitcnt vmcnt(0)
	flat_load_dword v0, v[2:3] offset:4
	buffer_load_dword v5, off, s[0:3], s33 offset:148 ; 4-byte Folded Reload
	s_nop 0
	buffer_load_dword v2, off, s[0:3], s33 offset:112 ; 4-byte Folded Reload
	buffer_load_dword v3, off, s[0:3], s33 offset:116 ; 4-byte Folded Reload
	;; [unrolled: 1-line block ×3, first 2 shown]
	s_waitcnt vmcnt(0) lgkmcnt(0)
	v_ashrrev_i32_e32 v4, 31, v0
	v_mad_u64_u32 v[2:3], s[26:27], v5, v0, v[2:3]
	v_mul_lo_u32 v0, v6, v0
	v_mul_lo_u32 v4, v5, v4
	v_add3_u32 v3, v0, v3, v4
	s_branch .LBB10_804
.LBB10_803:                             ;   in Loop: Header=BB10_804 Depth=2
	s_or_b64 exec, exec, s[26:27]
	v_add_u32_e32 v22, v55, v22
	v_cmp_ge_i32_e32 vcc, v22, v38
	s_xor_b64 s[26:27], s[42:43], -1
	s_or_b64 s[26:27], s[26:27], vcc
	s_and_b64 s[26:27], exec, s[26:27]
	s_or_b64 s[40:41], s[26:27], s[40:41]
	s_mov_b64 s[42:43], 0
	v_mov_b32_e32 v0, s48
	s_mov_b32 s48, 2
	s_andn2_b64 exec, exec, s[40:41]
	s_cbranch_execz .LBB10_940
.LBB10_804:                             ;   Parent Loop BB10_73 Depth=1
                                        ; =>  This Loop Header: Depth=2
                                        ;       Child Loop BB10_812 Depth 3
                                        ;       Child Loop BB10_836 Depth 3
	;; [unrolled: 1-line block ×9, first 2 shown]
	s_and_saveexec_b64 s[26:27], s[4:5]
	s_cbranch_execz .LBB10_806
; %bb.805:                              ;   in Loop: Header=BB10_804 Depth=2
	s_trap 2
	ds_read_b128 v[4:7], v0
	v_ashrrev_i32_e32 v8, 31, v22
	s_waitcnt lgkmcnt(0)
	v_add_co_u32_e32 v0, vcc, v4, v2
	v_addc_co_u32_e32 v5, vcc, v5, v3, vcc
	v_add_co_u32_e32 v4, vcc, v0, v22
	v_addc_co_u32_e32 v5, vcc, v5, v8, vcc
	ds_write_b64 v0, v[4:5]
	v_add_co_u32_e32 v0, vcc, v6, v2
	v_addc_co_u32_e32 v4, vcc, v7, v3, vcc
	v_add_co_u32_e32 v0, vcc, v0, v22
	v_addc_co_u32_e32 v4, vcc, v4, v8, vcc
	v_cmp_ne_u64_e32 vcc, 0, v[6:7]
	v_cndmask_b32_e32 v5, 0, v4, vcc
	v_cndmask_b32_e32 v4, 0, v0, vcc
	ds_write_b64 v0, v[4:5]
.LBB10_806:                             ;   in Loop: Header=BB10_804 Depth=2
	s_or_b64 exec, exec, s[26:27]
	v_and_b32_e32 v0, 4, v56
	v_cmp_ne_u32_e32 vcc, 0, v0
	s_and_saveexec_b64 s[74:75], vcc
	s_cbranch_execz .LBB10_828
; %bb.807:                              ;   in Loop: Header=BB10_804 Depth=2
	v_add_co_u32_e32 v4, vcc, 2, v48
	v_addc_co_u32_e32 v5, vcc, 0, v49, vcc
	s_waitcnt vmcnt(0)
	v_cmp_lt_u64_e32 vcc, v[32:33], v[4:5]
	s_and_saveexec_b64 s[76:77], vcc
	s_cbranch_execz .LBB10_819
; %bb.808:                              ;   in Loop: Header=BB10_804 Depth=2
	v_and_b32_e32 v0, 64, v56
	s_mov_b32 s49, 0
	v_cmp_eq_u32_e32 vcc, 0, v0
	s_mov_b64 s[78:79], 0
                                        ; implicit-def: $sgpr88_sgpr89
                                        ; implicit-def: $sgpr90_sgpr91
                                        ; implicit-def: $sgpr92_sgpr93
	s_branch .LBB10_812
.LBB10_809:                             ;   in Loop: Header=BB10_812 Depth=3
	s_waitcnt vmcnt(0) lgkmcnt(0)
	v_cmp_ge_u64_e64 s[26:27], v[32:33], v[4:5]
	s_or_b64 s[34:35], s[34:35], exec
	s_orn2_b64 s[30:31], s[26:27], exec
.LBB10_810:                             ;   in Loop: Header=BB10_812 Depth=3
	s_or_b64 exec, exec, s[38:39]
	s_andn2_b64 s[26:27], s[92:93], exec
	s_and_b64 s[92:93], s[34:35], exec
	s_or_b64 s[92:93], s[26:27], s[92:93]
	s_andn2_b64 s[26:27], s[90:91], exec
	s_and_b64 s[90:91], s[30:31], exec
	s_or_b64 s[90:91], s[26:27], s[90:91]
.LBB10_811:                             ;   in Loop: Header=BB10_812 Depth=3
	s_or_b64 exec, exec, s[94:95]
	s_and_b64 s[26:27], exec, s[90:91]
	s_or_b64 s[78:79], s[26:27], s[78:79]
	s_andn2_b64 s[26:27], s[88:89], exec
	s_and_b64 s[88:89], s[92:93], exec
	s_or_b64 s[88:89], s[26:27], s[88:89]
	s_andn2_b64 exec, exec, s[78:79]
	s_cbranch_execz .LBB10_816
.LBB10_812:                             ;   Parent Loop BB10_73 Depth=1
                                        ;     Parent Loop BB10_804 Depth=2
                                        ; =>    This Inner Loop Header: Depth=3
	s_sleep 1
	s_waitcnt vmcnt(0) lgkmcnt(0)
	flat_load_dwordx2 v[32:33], v[24:25] glc
	s_or_b64 s[92:93], s[92:93], exec
	s_or_b64 s[90:91], s[90:91], exec
                                        ; implicit-def: $vgpr0
	s_and_saveexec_b64 s[94:95], vcc
	s_cbranch_execz .LBB10_811
; %bb.813:                              ;   in Loop: Header=BB10_812 Depth=3
	s_cmpk_lt_i32 s49, 0x270f
	s_cselect_b64 s[36:37], -1, 0
	s_cmpk_gt_i32 s49, 0x270e
	s_mov_b64 s[30:31], -1
	s_cbranch_scc0 .LBB10_815
; %bb.814:                              ;   in Loop: Header=BB10_812 Depth=3
	s_trap 2
	ds_read_b64 v[6:7], v0
	s_andn2_b64 s[36:37], s[36:37], exec
	s_mov_b32 s49, 0
	s_mov_b64 s[34:35], 0
	s_waitcnt vmcnt(0) lgkmcnt(0)
	flat_load_dword v0, v[6:7] glc
	s_waitcnt vmcnt(0) lgkmcnt(0)
	buffer_wbinvl1_vol
	v_cmp_eq_u32_e64 s[26:27], 0, v0
	s_and_b64 s[26:27], s[26:27], exec
	s_or_b64 s[36:37], s[36:37], s[26:27]
	s_and_saveexec_b64 s[38:39], s[36:37]
	s_cbranch_execz .LBB10_810
	s_branch .LBB10_809
.LBB10_815:                             ;   in Loop: Header=BB10_812 Depth=3
	s_add_i32 s49, s49, 1
	s_mov_b64 s[34:35], -1
                                        ; implicit-def: $vgpr0
	s_and_saveexec_b64 s[38:39], s[36:37]
	s_cbranch_execz .LBB10_810
	s_branch .LBB10_809
.LBB10_816:                             ;   in Loop: Header=BB10_804 Depth=2
	s_or_b64 exec, exec, s[78:79]
	s_xor_b64 s[26:27], s[88:89], -1
	s_and_saveexec_b64 s[78:79], s[26:27]
	s_xor_b64 s[26:27], exec, s[78:79]
	s_cbranch_execz .LBB10_818
; %bb.817:                              ;   in Loop: Header=BB10_804 Depth=2
	v_or_b32_e32 v56, 64, v56
	s_waitcnt lgkmcnt(0)
	ds_write_b32 v0, v0
	s_trap 2
.LBB10_818:                             ;   in Loop: Header=BB10_804 Depth=2
	s_or_b64 exec, exec, s[26:27]
.LBB10_819:                             ;   in Loop: Header=BB10_804 Depth=2
	s_or_b64 exec, exec, s[76:77]
	v_and_b32_e32 v0, 0x100, v56
	v_cmp_ne_u32_e32 vcc, 0, v0
	v_and_b32_e32 v0, 7, v48
	s_mov_b64 s[26:27], -1
	;;#ASMSTART
	s_wakeup
	;;#ASMEND
                                        ; implicit-def: $vgpr48_vgpr49
	s_and_saveexec_b64 s[76:77], vcc
	s_cbranch_execz .LBB10_823
; %bb.820:                              ;   in Loop: Header=BB10_804 Depth=2
	v_mad_u64_u32 v[50:51], s[26:27], v0, 24, v[26:27]
                                        ; implicit-def: $vgpr48_vgpr49
	flat_load_dword v6, v[50:51]
	s_waitcnt vmcnt(0) lgkmcnt(0)
	v_cmp_ne_u32_e32 vcc, 1, v6
	v_cmp_eq_u32_e64 s[26:27], 1, v6
	s_and_saveexec_b64 s[78:79], s[26:27]
	s_cbranch_execz .LBB10_822
; %bb.821:                              ;   in Loop: Header=BB10_804 Depth=2
	flat_load_dword v48, v[50:51] offset:4 glc
	s_waitcnt vmcnt(0) lgkmcnt(0)
	v_ashrrev_i32_e32 v49, 31, v48
.LBB10_822:                             ;   in Loop: Header=BB10_804 Depth=2
	s_or_b64 exec, exec, s[78:79]
	s_orn2_b64 s[26:27], vcc, exec
.LBB10_823:                             ;   in Loop: Header=BB10_804 Depth=2
	s_or_b64 exec, exec, s[76:77]
	s_and_saveexec_b64 s[76:77], s[26:27]
; %bb.824:                              ;   in Loop: Header=BB10_804 Depth=2
	v_mad_i64_i32 v[48:49], s[26:27], v0, v61, 0
; %bb.825:                              ;   in Loop: Header=BB10_804 Depth=2
	s_or_b64 exec, exec, s[76:77]
	v_add_co_u32_e32 v6, vcc, v12, v48
	v_addc_co_u32_e32 v7, vcc, v13, v49, vcc
	ds_write_b64 v0, v[6:7] offset:720
	v_and_b32_e32 v0, 0x2000, v56
	v_cmp_ne_u32_e32 vcc, 0, v0
	s_and_saveexec_b64 s[26:27], vcc
	s_cbranch_execz .LBB10_827
; %bb.826:                              ;   in Loop: Header=BB10_804 Depth=2
	ds_read_b64 v[6:7], v0 offset:872
	s_waitcnt lgkmcnt(0)
	v_add_co_u32_e32 v6, vcc, 1, v6
	v_addc_co_u32_e32 v7, vcc, 0, v7, vcc
	ds_write_b64 v0, v[6:7] offset:872
.LBB10_827:                             ;   in Loop: Header=BB10_804 Depth=2
	s_or_b64 exec, exec, s[26:27]
	v_mov_b32_e32 v49, v5
	v_mov_b32_e32 v48, v4
.LBB10_828:                             ;   in Loop: Header=BB10_804 Depth=2
	s_or_b64 exec, exec, s[74:75]
	s_and_saveexec_b64 s[26:27], s[12:13]
	s_cbranch_execz .LBB10_847
; %bb.829:                              ;   in Loop: Header=BB10_804 Depth=2
	s_and_saveexec_b64 s[74:75], s[58:59]
	s_xor_b64 s[74:75], exec, s[74:75]
	s_cbranch_execz .LBB10_844
; %bb.830:                              ;   in Loop: Header=BB10_804 Depth=2
	s_and_saveexec_b64 s[76:77], s[6:7]
	s_cbranch_execz .LBB10_843
; %bb.831:                              ;   in Loop: Header=BB10_804 Depth=2
	s_mov_b64 s[88:89], exec
	v_mbcnt_lo_u32_b32 v0, s88, 0
	v_mbcnt_hi_u32_b32 v0, s89, v0
	v_cmp_eq_u32_e32 vcc, 0, v0
	s_waitcnt vmcnt(0) lgkmcnt(0)
	buffer_wbinvl1_vol
	s_and_saveexec_b64 s[78:79], vcc
	s_cbranch_execz .LBB10_833
; %bb.832:                              ;   in Loop: Header=BB10_804 Depth=2
	s_bcnt1_i32_b64 s88, s[88:89]
	v_mov_b32_e32 v34, s88
	ds_add_u64 v0, v[34:35]
	s_trap 2
.LBB10_833:                             ;   in Loop: Header=BB10_804 Depth=2
	s_or_b64 exec, exec, s[78:79]
	s_trap 2
	ds_read_b64 v[4:5], v0
	s_waitcnt lgkmcnt(0)
	v_add_co_u32_e32 v14, vcc, v14, v62
	v_addc_co_u32_e32 v15, vcc, 0, v15, vcc
	v_cmp_lt_u64_e32 vcc, v[4:5], v[14:15]
	s_and_saveexec_b64 s[78:79], vcc
	s_cbranch_execz .LBB10_842
; %bb.834:                              ;   in Loop: Header=BB10_804 Depth=2
	s_mov_b32 s34, 0
	s_mov_b64 s[88:89], 0
                                        ; implicit-def: $sgpr90_sgpr91
                                        ; implicit-def: $sgpr92_sgpr93
	s_branch .LBB10_836
.LBB10_835:                             ;   in Loop: Header=BB10_836 Depth=3
	s_or_b64 exec, exec, s[30:31]
	s_and_b64 s[94:95], exec, vcc
	s_or_b64 s[88:89], s[94:95], s[88:89]
	s_andn2_b64 s[90:91], s[90:91], exec
	s_and_b64 s[94:95], s[92:93], exec
	s_or_b64 s[90:91], s[90:91], s[94:95]
	s_andn2_b64 exec, exec, s[88:89]
	s_cbranch_execz .LBB10_840
.LBB10_836:                             ;   Parent Loop BB10_73 Depth=1
                                        ;     Parent Loop BB10_804 Depth=2
                                        ; =>    This Inner Loop Header: Depth=3
	s_add_i32 s34, s34, 1
	s_cmpk_lg_i32 s34, 0x2710
	s_cselect_b64 s[94:95], -1, 0
	s_and_b64 vcc, exec, s[94:95]
	s_cbranch_vccz .LBB10_838
; %bb.837:                              ;   in Loop: Header=BB10_836 Depth=3
	s_mov_b64 vcc, -1
	s_or_b64 s[92:93], s[92:93], exec
	s_and_saveexec_b64 s[30:31], s[94:95]
	s_cbranch_execz .LBB10_835
	s_branch .LBB10_839
.LBB10_838:                             ;   in Loop: Header=BB10_836 Depth=3
	s_trap 2
	ds_read_b64 v[4:5], v0
	s_andn2_b64 s[94:95], s[94:95], exec
	s_mov_b32 s34, 0
	s_waitcnt lgkmcnt(0)
	flat_load_dword v0, v[4:5] glc
	s_waitcnt vmcnt(0) lgkmcnt(0)
	buffer_wbinvl1_vol
	v_cmp_eq_u32_e32 vcc, 0, v0
	s_and_b64 vcc, vcc, exec
	s_or_b64 s[94:95], s[94:95], vcc
	s_mov_b64 vcc, -1
	s_or_b64 s[92:93], s[92:93], exec
	s_and_saveexec_b64 s[30:31], s[94:95]
	s_cbranch_execz .LBB10_835
.LBB10_839:                             ;   in Loop: Header=BB10_836 Depth=3
	s_sleep 1
	s_trap 2
	ds_read_b64 v[4:5], v0
	s_waitcnt lgkmcnt(0)
	s_andn2_b64 s[92:93], s[92:93], exec
	v_cmp_ge_u64_e32 vcc, v[4:5], v[14:15]
	s_orn2_b64 vcc, vcc, exec
	s_branch .LBB10_835
.LBB10_840:                             ;   in Loop: Header=BB10_804 Depth=2
	s_or_b64 exec, exec, s[88:89]
	s_and_saveexec_b64 s[88:89], s[90:91]
	s_xor_b64 s[88:89], exec, s[88:89]
	s_cbranch_execz .LBB10_842
; %bb.841:                              ;   in Loop: Header=BB10_804 Depth=2
	ds_write_b32 v0, v46
	s_trap 2
.LBB10_842:                             ;   in Loop: Header=BB10_804 Depth=2
	s_or_b64 exec, exec, s[78:79]
	;;#ASMSTART
	s_wakeup
	;;#ASMEND
.LBB10_843:                             ;   in Loop: Header=BB10_804 Depth=2
	s_or_b64 exec, exec, s[76:77]
.LBB10_844:                             ;   in Loop: Header=BB10_804 Depth=2
	s_andn2_saveexec_b64 s[74:75], s[74:75]
	s_cbranch_execz .LBB10_846
; %bb.845:                              ;   in Loop: Header=BB10_804 Depth=2
	s_waitcnt vmcnt(0) lgkmcnt(0)
	buffer_wbinvl1_vol
	s_barrier
.LBB10_846:                             ;   in Loop: Header=BB10_804 Depth=2
	s_or_b64 exec, exec, s[74:75]
.LBB10_847:                             ;   in Loop: Header=BB10_804 Depth=2
	s_or_b64 exec, exec, s[26:27]
	s_trap 2
	ds_read_b32 v0, v0
	v_and_b32_e32 v4, 0x4000, v56
	v_cmp_ne_u32_e32 vcc, 0, v4
	s_xor_b64 s[26:27], s[10:11], -1
	s_and_b64 s[74:75], s[26:27], vcc
	s_and_saveexec_b64 s[26:27], s[74:75]
	s_cbranch_execz .LBB10_866
; %bb.848:                              ;   in Loop: Header=BB10_804 Depth=2
	s_and_saveexec_b64 s[74:75], s[58:59]
	s_xor_b64 s[74:75], exec, s[74:75]
	s_cbranch_execz .LBB10_863
; %bb.849:                              ;   in Loop: Header=BB10_804 Depth=2
	s_and_saveexec_b64 s[76:77], s[6:7]
	s_cbranch_execz .LBB10_862
; %bb.850:                              ;   in Loop: Header=BB10_804 Depth=2
	s_mov_b64 s[88:89], exec
	v_mbcnt_lo_u32_b32 v4, s88, 0
	v_mbcnt_hi_u32_b32 v4, s89, v4
	v_cmp_eq_u32_e32 vcc, 0, v4
	s_waitcnt vmcnt(0) lgkmcnt(0)
	buffer_wbinvl1_vol
	s_and_saveexec_b64 s[78:79], vcc
	s_cbranch_execz .LBB10_852
; %bb.851:                              ;   in Loop: Header=BB10_804 Depth=2
	s_bcnt1_i32_b64 s88, s[88:89]
	v_mov_b32_e32 v34, s88
	ds_add_u64 v0, v[34:35]
	s_trap 2
.LBB10_852:                             ;   in Loop: Header=BB10_804 Depth=2
	s_or_b64 exec, exec, s[78:79]
	s_trap 2
	ds_read_b64 v[4:5], v0
	s_waitcnt lgkmcnt(0)
	v_add_co_u32_e32 v14, vcc, v14, v62
	v_addc_co_u32_e32 v15, vcc, 0, v15, vcc
	v_cmp_lt_u64_e32 vcc, v[4:5], v[14:15]
	s_and_saveexec_b64 s[78:79], vcc
	s_cbranch_execz .LBB10_861
; %bb.853:                              ;   in Loop: Header=BB10_804 Depth=2
	s_mov_b32 s34, 0
	s_mov_b64 s[88:89], 0
                                        ; implicit-def: $sgpr90_sgpr91
                                        ; implicit-def: $sgpr92_sgpr93
	s_branch .LBB10_855
.LBB10_854:                             ;   in Loop: Header=BB10_855 Depth=3
	s_or_b64 exec, exec, s[30:31]
	s_and_b64 s[94:95], exec, vcc
	s_or_b64 s[88:89], s[94:95], s[88:89]
	s_andn2_b64 s[90:91], s[90:91], exec
	s_and_b64 s[94:95], s[92:93], exec
	s_or_b64 s[90:91], s[90:91], s[94:95]
	s_andn2_b64 exec, exec, s[88:89]
	s_cbranch_execz .LBB10_859
.LBB10_855:                             ;   Parent Loop BB10_73 Depth=1
                                        ;     Parent Loop BB10_804 Depth=2
                                        ; =>    This Inner Loop Header: Depth=3
	s_add_i32 s34, s34, 1
	s_cmpk_lg_i32 s34, 0x2710
	s_cselect_b64 s[94:95], -1, 0
	s_and_b64 vcc, exec, s[94:95]
	s_cbranch_vccz .LBB10_857
; %bb.856:                              ;   in Loop: Header=BB10_855 Depth=3
	s_mov_b64 vcc, -1
	s_or_b64 s[92:93], s[92:93], exec
	s_and_saveexec_b64 s[30:31], s[94:95]
	s_cbranch_execz .LBB10_854
	s_branch .LBB10_858
.LBB10_857:                             ;   in Loop: Header=BB10_855 Depth=3
	s_trap 2
	ds_read_b64 v[4:5], v0
	s_andn2_b64 s[94:95], s[94:95], exec
	s_mov_b32 s34, 0
	s_waitcnt lgkmcnt(0)
	flat_load_dword v4, v[4:5] glc
	s_waitcnt vmcnt(0) lgkmcnt(0)
	buffer_wbinvl1_vol
	v_cmp_eq_u32_e32 vcc, 0, v4
	s_and_b64 vcc, vcc, exec
	s_or_b64 s[94:95], s[94:95], vcc
	s_mov_b64 vcc, -1
	s_or_b64 s[92:93], s[92:93], exec
	s_and_saveexec_b64 s[30:31], s[94:95]
	s_cbranch_execz .LBB10_854
.LBB10_858:                             ;   in Loop: Header=BB10_855 Depth=3
	s_sleep 1
	s_trap 2
	ds_read_b64 v[4:5], v0
	s_waitcnt lgkmcnt(0)
	s_andn2_b64 s[92:93], s[92:93], exec
	v_cmp_ge_u64_e32 vcc, v[4:5], v[14:15]
	s_orn2_b64 vcc, vcc, exec
	s_branch .LBB10_854
.LBB10_859:                             ;   in Loop: Header=BB10_804 Depth=2
	s_or_b64 exec, exec, s[88:89]
	s_and_saveexec_b64 s[88:89], s[90:91]
	s_xor_b64 s[88:89], exec, s[88:89]
	s_cbranch_execz .LBB10_861
; %bb.860:                              ;   in Loop: Header=BB10_804 Depth=2
	ds_write_b32 v0, v46
	s_trap 2
.LBB10_861:                             ;   in Loop: Header=BB10_804 Depth=2
	s_or_b64 exec, exec, s[78:79]
	;;#ASMSTART
	s_wakeup
	;;#ASMEND
.LBB10_862:                             ;   in Loop: Header=BB10_804 Depth=2
	s_or_b64 exec, exec, s[76:77]
.LBB10_863:                             ;   in Loop: Header=BB10_804 Depth=2
	s_andn2_saveexec_b64 s[74:75], s[74:75]
	s_cbranch_execz .LBB10_865
; %bb.864:                              ;   in Loop: Header=BB10_804 Depth=2
	s_waitcnt vmcnt(0) lgkmcnt(0)
	buffer_wbinvl1_vol
	s_barrier
.LBB10_865:                             ;   in Loop: Header=BB10_804 Depth=2
	s_or_b64 exec, exec, s[74:75]
.LBB10_866:                             ;   in Loop: Header=BB10_804 Depth=2
	s_or_b64 exec, exec, s[26:27]
	v_sub_u32_e32 v4, v38, v22
	v_min_i32_e32 v55, v55, v4
	s_trap 2
	s_waitcnt lgkmcnt(0)
	ds_read_b64 v[4:5], v0
	s_waitcnt lgkmcnt(0)
	v_cmp_eq_u64_e32 vcc, 0, v[4:5]
	s_cbranch_vccnz .LBB10_874
; %bb.867:                              ;   in Loop: Header=BB10_804 Depth=2
	s_trap 2
	ds_read_b64 v[50:51], v0
	s_waitcnt lgkmcnt(0)
	v_cmp_eq_u64_e32 vcc, 0, v[50:51]
	s_cbranch_vccnz .LBB10_874
; %bb.868:                              ;   in Loop: Header=BB10_804 Depth=2
	s_mov_b64 s[26:27], -1
	s_and_saveexec_b64 s[74:75], s[24:25]
	s_cbranch_execz .LBB10_870
; %bb.869:                              ;   in Loop: Header=BB10_804 Depth=2
	ds_read_b32 v6, v0 offset:720
	s_waitcnt lgkmcnt(0)
	v_and_b32_e32 v6, 15, v6
	v_cmp_eq_u32_e32 vcc, 0, v6
	s_orn2_b64 s[26:27], vcc, exec
.LBB10_870:                             ;   in Loop: Header=BB10_804 Depth=2
	s_or_b64 exec, exec, s[74:75]
	s_and_saveexec_b64 s[74:75], s[14:15]
	s_cbranch_execz .LBB10_872
; %bb.871:                              ;   in Loop: Header=BB10_804 Depth=2
	ds_read_b32 v6, v0 offset:784
	s_waitcnt lgkmcnt(0)
	v_and_b32_e32 v6, 15, v6
	v_cmp_eq_u32_e32 vcc, 0, v6
	s_and_b64 s[76:77], s[26:27], vcc
	s_andn2_b64 s[26:27], s[26:27], exec
	s_and_b64 s[76:77], s[76:77], exec
	s_or_b64 s[26:27], s[26:27], s[76:77]
.LBB10_872:                             ;   in Loop: Header=BB10_804 Depth=2
	s_or_b64 exec, exec, s[74:75]
	v_cmp_eq_u32_e32 vcc, 0, v0
	s_xor_b64 s[26:27], s[26:27], -1
	v_cndmask_b32_e32 v21, 0, v55, vcc
	v_cndmask_b32_e64 v0, 0, 1, s[26:27]
	s_mov_b64 s[76:77], -1
	v_cmp_ne_u32_e32 vcc, 0, v0
	v_mov_b32_e32 v0, 0
	v_mov_b32_e32 v16, v21
	s_waitcnt vmcnt(0)
	v_mov_b32_e32 v8, v59
	v_mov_b32_e32 v20, v60
	s_cbranch_vccz .LBB10_879
; %bb.873:                              ;   in Loop: Header=BB10_804 Depth=2
	s_and_saveexec_b64 s[26:27], s[76:77]
	s_cbranch_execnz .LBB10_892
	s_branch .LBB10_900
.LBB10_874:                             ;   in Loop: Header=BB10_804 Depth=2
	s_mov_b64 s[26:27], 0
	s_and_saveexec_b64 s[74:75], s[12:13]
	s_cbranch_execnz .LBB10_901
.LBB10_875:                             ;   in Loop: Header=BB10_804 Depth=2
	s_or_b64 exec, exec, s[74:75]
	s_and_saveexec_b64 s[74:75], s[18:19]
	s_xor_b64 s[74:75], exec, s[74:75]
	s_cbranch_execz .LBB10_919
.LBB10_876:                             ;   in Loop: Header=BB10_804 Depth=2
	v_and_b32_e32 v0, 16, v56
	v_cmp_ne_u32_e32 vcc, 0, v0
	s_and_b64 s[76:77], vcc, s[26:27]
	s_and_saveexec_b64 s[26:27], s[76:77]
	s_cbranch_execz .LBB10_878
; %bb.877:                              ;   in Loop: Header=BB10_804 Depth=2
	s_waitcnt vmcnt(0) lgkmcnt(0)
	buffer_wbinvl1_vol
.LBB10_878:                             ;   in Loop: Header=BB10_804 Depth=2
	s_or_b64 exec, exec, s[26:27]
	s_andn2_saveexec_b64 s[26:27], s[74:75]
	s_cbranch_execz .LBB10_938
	s_branch .LBB10_920
.LBB10_879:                             ;   in Loop: Header=BB10_804 Depth=2
	v_ashrrev_i32_e32 v0, 31, v21
	v_lshrrev_b32_e32 v0, 20, v0
	v_add_u32_e32 v0, v21, v0
	v_ashrrev_i32_e32 v0, 12, v0
	v_sub_u32_e32 v18, v0, v60
	v_cmp_lt_i32_e32 vcc, 0, v18
	s_and_saveexec_b64 s[26:27], vcc
	s_cbranch_execz .LBB10_883
; %bb.880:                              ;   in Loop: Header=BB10_804 Depth=2
	v_mov_b32_e32 v17, v55
	v_mov_b32_e32 v53, v51
	;; [unrolled: 1-line block ×4, first 2 shown]
	s_mov_b64 s[74:75], 0
	v_mov_b32_e32 v52, v50
	v_mov_b32_e32 v54, v4
	v_lshlrev_b32_e32 v16, 12, v62
.LBB10_881:                             ;   Parent Loop BB10_73 Depth=1
                                        ;     Parent Loop BB10_804 Depth=2
                                        ; =>    This Inner Loop Header: Depth=3
	v_add_co_u32_e32 v6, vcc, v11, v54
	v_addc_co_u32_e32 v7, vcc, v8, v55, vcc
	global_load_dwordx4 v[26:29], v[6:7], off glc slc
	global_load_dwordx4 v[39:42], v[6:7], off offset:1024 glc slc
	global_load_dwordx4 v[43:46], v[6:7], off offset:2048 glc slc
	;; [unrolled: 1-line block ×3, first 2 shown]
	v_add_co_u32_e32 v6, vcc, v11, v52
	v_addc_co_u32_e32 v7, vcc, v8, v53, vcc
	v_add_co_u32_e32 v54, vcc, v54, v16
	v_addc_co_u32_e32 v55, vcc, 0, v55, vcc
	v_add_co_u32_e32 v52, vcc, v52, v16
	v_sub_u32_e32 v18, v18, v62
	v_addc_co_u32_e32 v53, vcc, 0, v53, vcc
	v_cmp_gt_i32_e32 vcc, 1, v18
	s_or_b64 s[74:75], vcc, s[74:75]
	s_waitcnt vmcnt(0)
	global_store_dwordx4 v[6:7], v[26:29], off glc slc
	global_store_dwordx4 v[6:7], v[39:42], off offset:1024 glc slc
	global_store_dwordx4 v[6:7], v[43:46], off offset:2048 glc slc
	;; [unrolled: 1-line block ×3, first 2 shown]
	s_andn2_b64 exec, exec, s[74:75]
	s_cbranch_execnz .LBB10_881
; %bb.882:                              ;   in Loop: Header=BB10_804 Depth=2
	s_or_b64 exec, exec, s[74:75]
	buffer_load_dword v59, off, s[0:3], s33 offset:136 ; 4-byte Folded Reload
	buffer_load_dword v26, off, s[0:3], s33 offset:72 ; 4-byte Folded Reload
	;; [unrolled: 1-line block ×8, first 2 shown]
	v_mov_b32_e32 v54, v8
	v_mov_b32_e32 v46, 1
	;; [unrolled: 1-line block ×5, first 2 shown]
.LBB10_883:                             ;   in Loop: Header=BB10_804 Depth=2
	s_or_b64 exec, exec, s[26:27]
	v_lshlrev_b32_e32 v17, 12, v0
	v_cmp_ne_u32_e32 vcc, v21, v17
	s_mov_b64 s[76:77], 0
	v_mov_b32_e32 v0, 0
                                        ; implicit-def: $vgpr16
                                        ; implicit-def: $vgpr8
                                        ; implicit-def: $vgpr20
	s_and_saveexec_b64 s[74:75], vcc
	s_cbranch_execz .LBB10_891
; %bb.884:                              ;   in Loop: Header=BB10_804 Depth=2
	buffer_load_dword v7, off, s[0:3], s33 offset:108 ; 4-byte Folded Reload
	v_lshlrev_b32_e32 v0, 6, v18
	v_sub_u32_e32 v6, v21, v17
	s_waitcnt vmcnt(0)
	v_sub_u32_e32 v0, v7, v0
	v_ashrrev_i32_e32 v7, 31, v0
	v_lshrrev_b32_e32 v7, 26, v7
	v_add_u32_e32 v7, v0, v7
	v_ashrrev_i32_e32 v16, 6, v7
	v_and_b32_e32 v7, 0xffffffc0, v7
	v_sub_u32_e32 v18, v0, v7
	v_ashrrev_i32_e32 v7, 31, v6
	v_lshrrev_b32_e32 v7, 22, v7
	v_add_u32_e32 v7, v6, v7
	v_and_b32_e32 v19, 0xfffffc00, v7
	v_lshlrev_b32_e32 v0, 4, v18
	v_sub_u32_e32 v29, v6, v19
	v_lshl_add_u32 v8, v16, 10, v0
	v_ashrrev_i32_e32 v20, 10, v7
	v_cmp_lt_i32_e32 vcc, 15, v29
	v_sub_u32_e32 v0, v6, v8
	v_addc_co_u32_e64 v6, s[26:27], 0, v20, vcc
	v_sub_u32_e32 v28, v6, v16
	v_cmp_lt_i32_e64 s[26:27], 15, v0
	s_and_saveexec_b64 s[76:77], s[26:27]
	s_cbranch_execz .LBB10_888
; %bb.885:                              ;   in Loop: Header=BB10_804 Depth=2
	v_add_u32_e32 v8, v8, v17
	v_mov_b32_e32 v20, v55
	v_ashrrev_i32_e32 v16, 31, v8
	s_mov_b64 s[78:79], 0
.LBB10_886:                             ;   Parent Loop BB10_73 Depth=1
                                        ;     Parent Loop BB10_804 Depth=2
                                        ; =>    This Inner Loop Header: Depth=3
	v_add_co_u32_e64 v6, s[26:27], v4, v8
	v_addc_co_u32_e64 v7, s[26:27], v5, v16, s[26:27]
	global_load_dwordx4 v[52:55], v[6:7], off glc slc
	v_add_co_u32_e64 v6, s[26:27], v50, v8
	v_addc_co_u32_e64 v7, s[26:27], v51, v16, s[26:27]
	v_add_co_u32_e64 v8, s[26:27], v8, v31
	v_sub_u32_e32 v0, v0, v36
	v_addc_co_u32_e64 v16, s[26:27], v16, v1, s[26:27]
	v_cmp_gt_i32_e64 s[26:27], 16, v0
	v_sub_u32_e32 v28, v28, v62
	s_or_b64 s[78:79], s[26:27], s[78:79]
	s_waitcnt vmcnt(0)
	global_store_dwordx4 v[6:7], v[52:55], off glc slc
	s_andn2_b64 exec, exec, s[78:79]
	s_cbranch_execnz .LBB10_886
; %bb.887:                              ;   in Loop: Header=BB10_804 Depth=2
	s_or_b64 exec, exec, s[78:79]
	v_ashrrev_i32_e32 v54, 31, v11
	v_mov_b32_e32 v55, v20
.LBB10_888:                             ;   in Loop: Header=BB10_804 Depth=2
	s_or_b64 exec, exec, s[76:77]
	v_and_b32_e32 v30, 15, v21
	v_cndmask_b32_e32 v16, v29, v30, vcc
	v_mov_b32_e32 v0, 0
	v_cmp_ne_u32_e64 s[26:27], 0, v16
	s_mov_b64 s[78:79], 0
                                        ; implicit-def: $vgpr8
                                        ; implicit-def: $vgpr20
	s_and_saveexec_b64 s[76:77], s[26:27]
	s_cbranch_execz .LBB10_890
; %bb.889:                              ;   in Loop: Header=BB10_804 Depth=2
	v_sub_u32_e32 v0, v29, v30
	v_cndmask_b32_e32 v0, 0, v0, vcc
	v_cmp_lt_i32_e32 vcc, 0, v28
	v_cndmask_b32_e32 v6, 0, v62, vcc
	v_sub_u32_e32 v6, v6, v28
	v_lshl_add_u32 v8, v6, 6, v18
	v_ashrrev_i32_e32 v6, 31, v8
	v_lshrrev_b32_e32 v6, 26, v6
	v_add_u32_e32 v6, v8, v6
	v_add3_u32 v0, v19, v17, v0
	v_ashrrev_i32_e32 v20, 6, v6
	s_mov_b64 s[78:79], exec
.LBB10_890:                             ;   in Loop: Header=BB10_804 Depth=2
	s_or_b64 exec, exec, s[76:77]
	buffer_load_dword v26, off, s[0:3], s33 offset:72 ; 4-byte Folded Reload
	buffer_load_dword v27, off, s[0:3], s33 offset:76 ; 4-byte Folded Reload
	;; [unrolled: 1-line block ×4, first 2 shown]
	s_and_b64 s[76:77], s[78:79], exec
.LBB10_891:                             ;   in Loop: Header=BB10_804 Depth=2
	s_or_b64 exec, exec, s[74:75]
	s_and_saveexec_b64 s[26:27], s[76:77]
	s_cbranch_execz .LBB10_900
.LBB10_892:                             ;   in Loop: Header=BB10_804 Depth=2
	v_ashrrev_i32_e32 v6, 31, v16
	v_lshrrev_b32_e32 v6, 22, v6
	v_add_u32_e32 v6, v16, v6
	v_ashrrev_i32_e32 v19, 10, v6
	v_sub_u32_e32 v17, v19, v20
	v_ashrrev_i32_e32 v6, 31, v8
	v_cmp_lt_i32_e32 vcc, 0, v17
	v_lshrrev_b32_e32 v18, 26, v6
	s_and_saveexec_b64 s[74:75], vcc
	s_cbranch_execz .LBB10_896
; %bb.893:                              ;   in Loop: Header=BB10_804 Depth=2
	v_add_u32_e32 v6, v8, v18
	v_and_b32_e32 v6, 0xffffffc0, v6
	v_sub_u32_e32 v6, v8, v6
	v_lshlrev_b32_e32 v7, 10, v20
	v_add3_u32 v20, v0, v6, v7
	v_mov_b32_e32 v45, v55
	s_waitcnt vmcnt(0)
	v_ashrrev_i32_e32 v28, 31, v20
	s_mov_b64 s[76:77], 0
.LBB10_894:                             ;   Parent Loop BB10_73 Depth=1
                                        ;     Parent Loop BB10_804 Depth=2
                                        ; =>    This Inner Loop Header: Depth=3
	v_add_co_u32_e32 v6, vcc, v20, v4
	v_addc_co_u32_e32 v7, vcc, v28, v5, vcc
	flat_load_ubyte v26, v[6:7] glc slc
	flat_load_ubyte v27, v[6:7] offset:64 glc slc
	flat_load_ubyte v29, v[6:7] offset:128 glc slc
	;; [unrolled: 1-line block ×15, first 2 shown]
	v_add_co_u32_e32 v6, vcc, v20, v50
	v_addc_co_u32_e32 v7, vcc, v28, v51, vcc
	v_add_co_u32_e32 v4, vcc, v4, v31
	v_addc_co_u32_e32 v5, vcc, v5, v1, vcc
	v_add_co_u32_e32 v50, vcc, v50, v31
	v_sub_u32_e32 v17, v17, v62
	v_addc_co_u32_e32 v51, vcc, v51, v1, vcc
	v_cmp_gt_i32_e32 vcc, 1, v17
	s_or_b64 s[76:77], vcc, s[76:77]
	s_waitcnt vmcnt(0) lgkmcnt(0)
	flat_store_byte v[6:7], v26 glc slc
	flat_store_byte v[6:7], v27 offset:64 glc slc
	flat_store_byte v[6:7], v29 offset:128 glc slc
	flat_store_byte v[6:7], v30 offset:192 glc slc
	flat_store_byte v[6:7], v34 offset:256 glc slc
	flat_store_byte v[6:7], v37 offset:320 glc slc
	flat_store_byte v[6:7], v39 offset:384 glc slc
	flat_store_byte v[6:7], v52 offset:448 glc slc
	flat_store_byte v[6:7], v53 offset:512 glc slc
	flat_store_byte v[6:7], v54 offset:576 glc slc
	flat_store_byte v[6:7], v55 offset:640 glc slc
	flat_store_byte v[6:7], v40 offset:704 glc slc
	flat_store_byte v[6:7], v41 offset:768 glc slc
	flat_store_byte v[6:7], v42 offset:832 glc slc
	flat_store_byte v[6:7], v43 offset:896 glc slc
	flat_store_byte v[6:7], v44 offset:960 glc slc
	s_andn2_b64 exec, exec, s[76:77]
	s_cbranch_execnz .LBB10_894
; %bb.895:                              ;   in Loop: Header=BB10_804 Depth=2
	s_or_b64 exec, exec, s[76:77]
	buffer_load_dword v26, off, s[0:3], s33 offset:72 ; 4-byte Folded Reload
	buffer_load_dword v27, off, s[0:3], s33 offset:76 ; 4-byte Folded Reload
	;; [unrolled: 1-line block ×5, first 2 shown]
	v_add_u32_e32 v37, 0xfffffc00, v36
	v_ashrrev_i32_e32 v54, 31, v11
	v_mov_b32_e32 v55, v45
.LBB10_896:                             ;   in Loop: Header=BB10_804 Depth=2
	s_or_b64 exec, exec, s[74:75]
	v_lshlrev_b32_e32 v4, 10, v19
	buffer_load_dword v19, off, s[0:3], s33 offset:68 ; 4-byte Folded Reload
	v_cmp_ne_u32_e32 vcc, v16, v4
	s_and_b64 s[74:75], exec, vcc
	s_mov_b64 exec, s[74:75]
	s_cbranch_execz .LBB10_900
; %bb.897:                              ;   in Loop: Header=BB10_804 Depth=2
	v_add_u32_e32 v5, v8, v18
	v_and_b32_e32 v5, 0xffffffc0, v5
	v_sub_u32_e32 v5, v8, v5
	v_lshlrev_b32_e32 v6, 6, v17
	v_sub_u32_e32 v5, v5, v6
	v_add_u32_e32 v4, v4, v5
	v_sub_u32_e32 v8, v16, v4
	v_cmp_lt_i32_e32 vcc, 0, v8
	s_and_b64 exec, exec, vcc
	s_cbranch_execz .LBB10_900
; %bb.898:                              ;   in Loop: Header=BB10_804 Depth=2
	v_add_u32_e32 v0, v4, v0
	s_trap 2
	ds_read_b64 v[4:5], v0
	v_ashrrev_i32_e32 v16, 31, v0
	s_mov_b64 s[74:75], 0
.LBB10_899:                             ;   Parent Loop BB10_73 Depth=1
                                        ;     Parent Loop BB10_804 Depth=2
                                        ; =>    This Inner Loop Header: Depth=3
	s_waitcnt lgkmcnt(0)
	v_add_co_u32_e32 v6, vcc, v4, v0
	v_addc_co_u32_e32 v7, vcc, v5, v16, vcc
	flat_load_ubyte v17, v[6:7] glc slc
	v_add_co_u32_e32 v0, vcc, v0, v9
	s_waitcnt vmcnt(0)
	v_sub_u32_e32 v8, v8, v19
	v_addc_co_u32_e32 v16, vcc, v16, v10, vcc
	v_cmp_gt_i32_e32 vcc, 1, v8
	s_or_b64 s[74:75], vcc, s[74:75]
	s_waitcnt lgkmcnt(0)
	flat_store_byte v[6:7], v17 glc slc
	s_andn2_b64 exec, exec, s[74:75]
	s_cbranch_execnz .LBB10_899
.LBB10_900:                             ;   in Loop: Header=BB10_804 Depth=2
	s_or_b64 exec, exec, s[26:27]
	v_cmp_lt_i32_e64 s[26:27], 0, v21
	s_and_saveexec_b64 s[74:75], s[12:13]
	s_cbranch_execz .LBB10_875
.LBB10_901:                             ;   in Loop: Header=BB10_804 Depth=2
	s_and_saveexec_b64 s[76:77], s[58:59]
	s_xor_b64 s[76:77], exec, s[76:77]
	s_cbranch_execz .LBB10_916
; %bb.902:                              ;   in Loop: Header=BB10_804 Depth=2
	s_and_saveexec_b64 s[78:79], s[6:7]
	s_cbranch_execz .LBB10_915
; %bb.903:                              ;   in Loop: Header=BB10_804 Depth=2
	s_mov_b64 s[90:91], exec
	v_mbcnt_lo_u32_b32 v0, s90, 0
	v_mbcnt_hi_u32_b32 v0, s91, v0
	v_cmp_eq_u32_e32 vcc, 0, v0
	s_waitcnt vmcnt(0) lgkmcnt(0)
	buffer_wbinvl1_vol
	s_and_saveexec_b64 s[88:89], vcc
	s_cbranch_execz .LBB10_905
; %bb.904:                              ;   in Loop: Header=BB10_804 Depth=2
	s_bcnt1_i32_b64 s90, s[90:91]
	v_mov_b32_e32 v34, s90
	ds_add_u64 v0, v[34:35]
	s_trap 2
.LBB10_905:                             ;   in Loop: Header=BB10_804 Depth=2
	s_or_b64 exec, exec, s[88:89]
	s_trap 2
	ds_read_b64 v[4:5], v0
	s_waitcnt lgkmcnt(0)
	v_add_co_u32_e32 v14, vcc, v14, v62
	v_addc_co_u32_e32 v15, vcc, 0, v15, vcc
	v_cmp_lt_u64_e32 vcc, v[4:5], v[14:15]
	s_and_saveexec_b64 s[88:89], vcc
	s_cbranch_execz .LBB10_914
; %bb.906:                              ;   in Loop: Header=BB10_804 Depth=2
	s_mov_b32 s36, 0
	s_mov_b64 s[90:91], 0
                                        ; implicit-def: $sgpr92_sgpr93
                                        ; implicit-def: $sgpr94_sgpr95
	s_branch .LBB10_908
.LBB10_907:                             ;   in Loop: Header=BB10_908 Depth=3
	s_or_b64 exec, exec, s[34:35]
	s_and_b64 vcc, exec, vcc
	s_or_b64 s[90:91], vcc, s[90:91]
	s_andn2_b64 s[92:93], s[92:93], exec
	s_and_b64 vcc, s[94:95], exec
	s_or_b64 s[92:93], s[92:93], vcc
	s_andn2_b64 exec, exec, s[90:91]
	s_cbranch_execz .LBB10_912
.LBB10_908:                             ;   Parent Loop BB10_73 Depth=1
                                        ;     Parent Loop BB10_804 Depth=2
                                        ; =>    This Inner Loop Header: Depth=3
	s_add_i32 s36, s36, 1
	s_cmpk_lg_i32 s36, 0x2710
	s_cselect_b64 s[30:31], -1, 0
	s_and_b64 vcc, exec, s[30:31]
	s_cbranch_vccz .LBB10_910
; %bb.909:                              ;   in Loop: Header=BB10_908 Depth=3
	s_mov_b64 vcc, -1
	s_or_b64 s[94:95], s[94:95], exec
	s_and_saveexec_b64 s[34:35], s[30:31]
	s_cbranch_execz .LBB10_907
	s_branch .LBB10_911
.LBB10_910:                             ;   in Loop: Header=BB10_908 Depth=3
	s_trap 2
	ds_read_b64 v[4:5], v0
	s_andn2_b64 s[30:31], s[30:31], exec
	s_mov_b32 s36, 0
	s_waitcnt lgkmcnt(0)
	flat_load_dword v0, v[4:5] glc
	s_waitcnt vmcnt(0) lgkmcnt(0)
	buffer_wbinvl1_vol
	v_cmp_eq_u32_e32 vcc, 0, v0
	s_and_b64 vcc, vcc, exec
	s_or_b64 s[30:31], s[30:31], vcc
	s_mov_b64 vcc, -1
	s_or_b64 s[94:95], s[94:95], exec
	s_and_saveexec_b64 s[34:35], s[30:31]
	s_cbranch_execz .LBB10_907
.LBB10_911:                             ;   in Loop: Header=BB10_908 Depth=3
	s_sleep 1
	s_trap 2
	ds_read_b64 v[4:5], v0
	s_waitcnt lgkmcnt(0)
	s_andn2_b64 s[94:95], s[94:95], exec
	v_cmp_ge_u64_e32 vcc, v[4:5], v[14:15]
	s_orn2_b64 vcc, vcc, exec
	s_branch .LBB10_907
.LBB10_912:                             ;   in Loop: Header=BB10_804 Depth=2
	s_or_b64 exec, exec, s[90:91]
	s_and_saveexec_b64 s[90:91], s[92:93]
	s_xor_b64 s[90:91], exec, s[90:91]
	s_cbranch_execz .LBB10_914
; %bb.913:                              ;   in Loop: Header=BB10_804 Depth=2
	ds_write_b32 v0, v46
	s_trap 2
.LBB10_914:                             ;   in Loop: Header=BB10_804 Depth=2
	s_or_b64 exec, exec, s[88:89]
	;;#ASMSTART
	s_wakeup
	;;#ASMEND
.LBB10_915:                             ;   in Loop: Header=BB10_804 Depth=2
	s_or_b64 exec, exec, s[78:79]
.LBB10_916:                             ;   in Loop: Header=BB10_804 Depth=2
	s_andn2_saveexec_b64 s[76:77], s[76:77]
	s_cbranch_execz .LBB10_918
; %bb.917:                              ;   in Loop: Header=BB10_804 Depth=2
	s_waitcnt vmcnt(0) lgkmcnt(0)
	buffer_wbinvl1_vol
	s_barrier
.LBB10_918:                             ;   in Loop: Header=BB10_804 Depth=2
	s_or_b64 exec, exec, s[76:77]
	s_or_b64 exec, exec, s[74:75]
	s_and_saveexec_b64 s[74:75], s[18:19]
	s_xor_b64 s[74:75], exec, s[74:75]
	s_cbranch_execnz .LBB10_876
.LBB10_919:                             ;   in Loop: Header=BB10_804 Depth=2
	s_andn2_saveexec_b64 s[26:27], s[74:75]
	s_cbranch_execz .LBB10_938
.LBB10_920:                             ;   in Loop: Header=BB10_804 Depth=2
	s_and_saveexec_b64 s[74:75], s[58:59]
	s_xor_b64 s[74:75], exec, s[74:75]
	s_cbranch_execz .LBB10_935
; %bb.921:                              ;   in Loop: Header=BB10_804 Depth=2
	s_and_saveexec_b64 s[76:77], s[6:7]
	s_cbranch_execz .LBB10_934
; %bb.922:                              ;   in Loop: Header=BB10_804 Depth=2
	s_mov_b64 s[88:89], exec
	v_mbcnt_lo_u32_b32 v0, s88, 0
	v_mbcnt_hi_u32_b32 v0, s89, v0
	v_cmp_eq_u32_e32 vcc, 0, v0
	;;#ASMSTART
	s_waitcnt lgkmcnt(0) vmcnt(0)
	;;#ASMEND
	s_and_saveexec_b64 s[78:79], vcc
	s_cbranch_execz .LBB10_924
; %bb.923:                              ;   in Loop: Header=BB10_804 Depth=2
	s_bcnt1_i32_b64 s88, s[88:89]
	v_mov_b32_e32 v34, s88
	s_waitcnt lgkmcnt(0)
	ds_add_u64 v0, v[34:35]
	s_trap 2
.LBB10_924:                             ;   in Loop: Header=BB10_804 Depth=2
	s_or_b64 exec, exec, s[78:79]
	s_trap 2
	ds_read_b64 v[4:5], v0
	s_waitcnt lgkmcnt(0)
	v_add_co_u32_e32 v14, vcc, v14, v62
	v_addc_co_u32_e32 v15, vcc, 0, v15, vcc
	v_cmp_lt_u64_e32 vcc, v[4:5], v[14:15]
	s_and_saveexec_b64 s[78:79], vcc
	s_cbranch_execz .LBB10_933
; %bb.925:                              ;   in Loop: Header=BB10_804 Depth=2
	s_mov_b32 s34, 0
	s_mov_b64 s[88:89], 0
                                        ; implicit-def: $sgpr90_sgpr91
                                        ; implicit-def: $sgpr92_sgpr93
	s_branch .LBB10_927
.LBB10_926:                             ;   in Loop: Header=BB10_927 Depth=3
	s_or_b64 exec, exec, s[30:31]
	s_and_b64 s[94:95], exec, vcc
	s_or_b64 s[88:89], s[94:95], s[88:89]
	s_andn2_b64 s[90:91], s[90:91], exec
	s_and_b64 s[94:95], s[92:93], exec
	s_or_b64 s[90:91], s[90:91], s[94:95]
	s_andn2_b64 exec, exec, s[88:89]
	s_cbranch_execz .LBB10_931
.LBB10_927:                             ;   Parent Loop BB10_73 Depth=1
                                        ;     Parent Loop BB10_804 Depth=2
                                        ; =>    This Inner Loop Header: Depth=3
	s_add_i32 s34, s34, 1
	s_cmpk_lg_i32 s34, 0x2710
	s_cselect_b64 s[94:95], -1, 0
	s_and_b64 vcc, exec, s[94:95]
	s_cbranch_vccz .LBB10_929
; %bb.928:                              ;   in Loop: Header=BB10_927 Depth=3
	s_mov_b64 vcc, -1
	s_or_b64 s[92:93], s[92:93], exec
	s_and_saveexec_b64 s[30:31], s[94:95]
	s_cbranch_execz .LBB10_926
	s_branch .LBB10_930
.LBB10_929:                             ;   in Loop: Header=BB10_927 Depth=3
	s_trap 2
	ds_read_b64 v[4:5], v0
	s_andn2_b64 s[94:95], s[94:95], exec
	s_mov_b32 s34, 0
	s_waitcnt vmcnt(0) lgkmcnt(0)
	flat_load_dword v0, v[4:5] glc
	s_waitcnt vmcnt(0) lgkmcnt(0)
	buffer_wbinvl1_vol
	v_cmp_eq_u32_e32 vcc, 0, v0
	s_and_b64 vcc, vcc, exec
	s_or_b64 s[94:95], s[94:95], vcc
	s_mov_b64 vcc, -1
	s_or_b64 s[92:93], s[92:93], exec
	s_and_saveexec_b64 s[30:31], s[94:95]
	s_cbranch_execz .LBB10_926
.LBB10_930:                             ;   in Loop: Header=BB10_927 Depth=3
	s_sleep 1
	s_trap 2
	ds_read_b64 v[4:5], v0
	s_waitcnt lgkmcnt(0)
	s_andn2_b64 s[92:93], s[92:93], exec
	v_cmp_ge_u64_e32 vcc, v[4:5], v[14:15]
	s_orn2_b64 vcc, vcc, exec
	s_branch .LBB10_926
.LBB10_931:                             ;   in Loop: Header=BB10_804 Depth=2
	s_or_b64 exec, exec, s[88:89]
	s_and_saveexec_b64 s[88:89], s[90:91]
	s_xor_b64 s[88:89], exec, s[88:89]
	s_cbranch_execz .LBB10_933
; %bb.932:                              ;   in Loop: Header=BB10_804 Depth=2
	ds_write_b32 v0, v46
	s_trap 2
.LBB10_933:                             ;   in Loop: Header=BB10_804 Depth=2
	s_or_b64 exec, exec, s[78:79]
	;;#ASMSTART
	s_wakeup
	;;#ASMEND
.LBB10_934:                             ;   in Loop: Header=BB10_804 Depth=2
	s_or_b64 exec, exec, s[76:77]
.LBB10_935:                             ;   in Loop: Header=BB10_804 Depth=2
	s_andn2_saveexec_b64 s[74:75], s[74:75]
	s_cbranch_execz .LBB10_937
; %bb.936:                              ;   in Loop: Header=BB10_804 Depth=2
	;;#ASMSTART
	s_waitcnt lgkmcnt(0) vmcnt(0)
	;;#ASMEND
	s_waitcnt vmcnt(0) lgkmcnt(0)
	s_barrier
.LBB10_937:                             ;   in Loop: Header=BB10_804 Depth=2
	s_or_b64 exec, exec, s[74:75]
.LBB10_938:                             ;   in Loop: Header=BB10_804 Depth=2
	s_or_b64 exec, exec, s[26:27]
	v_and_b32_e32 v0, 32, v56
	v_cmp_ne_u32_e32 vcc, 0, v0
	s_and_saveexec_b64 s[26:27], vcc
	s_cbranch_execz .LBB10_803
; %bb.939:                              ;   in Loop: Header=BB10_804 Depth=2
	v_add_co_u32_e32 v48, vcc, 2, v48
	v_addc_co_u32_e32 v49, vcc, 0, v49, vcc
	flat_store_dwordx2 v[24:25], v[48:49]
	s_branch .LBB10_803
.LBB10_940:                             ;   in Loop: Header=BB10_73 Depth=1
	s_or_b64 exec, exec, s[40:41]
.LBB10_941:                             ;   in Loop: Header=BB10_73 Depth=1
	s_or_b64 exec, exec, s[28:29]
	v_cmp_gt_i32_e32 vcc, 2, v0
	s_mov_b64 s[28:29], exec
	buffer_load_dword v6, off, s[0:3], s33 offset:156 ; 4-byte Folded Reload
	buffer_load_dword v7, off, s[0:3], s33 offset:160 ; 4-byte Folded Reload
	s_and_b64 s[26:27], s[28:29], vcc
	s_mov_b64 exec, s[26:27]
	s_cbranch_execz .LBB10_72
; %bb.942:                              ;   in Loop: Header=BB10_73 Depth=1
	v_cmp_eq_u32_e64 s[42:43], 0, v0
	s_mov_b64 s[40:41], 0
	s_branch .LBB10_944
.LBB10_943:                             ;   in Loop: Header=BB10_944 Depth=2
	s_or_b64 exec, exec, s[26:27]
	v_add_u32_e32 v22, v55, v22
	s_mov_b64 s[42:43], 0
	s_andn2_b64 exec, exec, s[40:41]
	s_cbranch_execz .LBB10_71
.LBB10_944:                             ;   Parent Loop BB10_73 Depth=1
                                        ; =>  This Loop Header: Depth=2
                                        ;       Child Loop BB10_950 Depth 3
                                        ;       Child Loop BB10_974 Depth 3
	;; [unrolled: 1-line block ×3, first 2 shown]
	v_and_b32_e32 v0, 4, v56
	v_cmp_ne_u32_e32 vcc, 0, v0
	s_and_saveexec_b64 s[74:75], vcc
	s_cbranch_execz .LBB10_966
; %bb.945:                              ;   in Loop: Header=BB10_944 Depth=2
	v_add_co_u32_e32 v2, vcc, 2, v48
	v_addc_co_u32_e32 v3, vcc, 0, v49, vcc
	s_waitcnt vmcnt(0) lgkmcnt(0)
	v_cmp_lt_u64_e32 vcc, v[32:33], v[2:3]
	s_and_saveexec_b64 s[76:77], vcc
	s_cbranch_execz .LBB10_957
; %bb.946:                              ;   in Loop: Header=BB10_944 Depth=2
	v_and_b32_e32 v0, 64, v56
	s_mov_b32 s48, 0
	v_cmp_eq_u32_e32 vcc, 0, v0
	s_mov_b64 s[78:79], 0
                                        ; implicit-def: $sgpr88_sgpr89
                                        ; implicit-def: $sgpr90_sgpr91
                                        ; implicit-def: $sgpr92_sgpr93
	s_branch .LBB10_950
.LBB10_947:                             ;   in Loop: Header=BB10_950 Depth=3
	s_waitcnt vmcnt(0) lgkmcnt(0)
	v_cmp_ge_u64_e64 s[26:27], v[32:33], v[2:3]
	s_or_b64 s[34:35], s[34:35], exec
	s_orn2_b64 s[30:31], s[26:27], exec
.LBB10_948:                             ;   in Loop: Header=BB10_950 Depth=3
	s_or_b64 exec, exec, s[38:39]
	s_andn2_b64 s[26:27], s[92:93], exec
	s_and_b64 s[92:93], s[34:35], exec
	s_or_b64 s[92:93], s[26:27], s[92:93]
	s_andn2_b64 s[26:27], s[90:91], exec
	s_and_b64 s[90:91], s[30:31], exec
	s_or_b64 s[90:91], s[26:27], s[90:91]
.LBB10_949:                             ;   in Loop: Header=BB10_950 Depth=3
	s_or_b64 exec, exec, s[94:95]
	s_and_b64 s[26:27], exec, s[90:91]
	s_or_b64 s[78:79], s[26:27], s[78:79]
	s_andn2_b64 s[26:27], s[88:89], exec
	s_and_b64 s[88:89], s[92:93], exec
	s_or_b64 s[88:89], s[26:27], s[88:89]
	s_andn2_b64 exec, exec, s[78:79]
	s_cbranch_execz .LBB10_954
.LBB10_950:                             ;   Parent Loop BB10_73 Depth=1
                                        ;     Parent Loop BB10_944 Depth=2
                                        ; =>    This Inner Loop Header: Depth=3
	s_sleep 1
	s_waitcnt vmcnt(0) lgkmcnt(0)
	flat_load_dwordx2 v[32:33], v[24:25] glc
	s_or_b64 s[92:93], s[92:93], exec
	s_or_b64 s[90:91], s[90:91], exec
                                        ; implicit-def: $vgpr0
	s_and_saveexec_b64 s[94:95], vcc
	s_cbranch_execz .LBB10_949
; %bb.951:                              ;   in Loop: Header=BB10_950 Depth=3
	s_cmpk_lt_i32 s48, 0x270f
	s_cselect_b64 s[36:37], -1, 0
	s_cmpk_gt_i32 s48, 0x270e
	s_mov_b64 s[30:31], -1
	s_cbranch_scc0 .LBB10_953
; %bb.952:                              ;   in Loop: Header=BB10_950 Depth=3
	s_trap 2
	ds_read_b64 v[4:5], v0
	s_andn2_b64 s[36:37], s[36:37], exec
	s_mov_b32 s48, 0
	s_mov_b64 s[34:35], 0
	s_waitcnt vmcnt(0) lgkmcnt(0)
	flat_load_dword v0, v[4:5] glc
	s_waitcnt vmcnt(0) lgkmcnt(0)
	buffer_wbinvl1_vol
	v_cmp_eq_u32_e64 s[26:27], 0, v0
	s_and_b64 s[26:27], s[26:27], exec
	s_or_b64 s[36:37], s[36:37], s[26:27]
	s_and_saveexec_b64 s[38:39], s[36:37]
	s_cbranch_execz .LBB10_948
	s_branch .LBB10_947
.LBB10_953:                             ;   in Loop: Header=BB10_950 Depth=3
	s_add_i32 s48, s48, 1
	s_mov_b64 s[34:35], -1
                                        ; implicit-def: $vgpr0
	s_and_saveexec_b64 s[38:39], s[36:37]
	s_cbranch_execz .LBB10_948
	s_branch .LBB10_947
.LBB10_954:                             ;   in Loop: Header=BB10_944 Depth=2
	s_or_b64 exec, exec, s[78:79]
	s_xor_b64 s[26:27], s[88:89], -1
	s_and_saveexec_b64 s[78:79], s[26:27]
	s_xor_b64 s[26:27], exec, s[78:79]
	s_cbranch_execz .LBB10_956
; %bb.955:                              ;   in Loop: Header=BB10_944 Depth=2
	v_or_b32_e32 v56, 64, v56
	s_waitcnt lgkmcnt(0)
	ds_write_b32 v0, v0
	s_trap 2
.LBB10_956:                             ;   in Loop: Header=BB10_944 Depth=2
	s_or_b64 exec, exec, s[26:27]
.LBB10_957:                             ;   in Loop: Header=BB10_944 Depth=2
	s_or_b64 exec, exec, s[76:77]
	v_and_b32_e32 v0, 0x100, v56
	v_cmp_ne_u32_e32 vcc, 0, v0
	v_and_b32_e32 v0, 7, v48
	s_mov_b64 s[26:27], -1
	;;#ASMSTART
	s_wakeup
	;;#ASMEND
                                        ; implicit-def: $vgpr4_vgpr5
	s_and_saveexec_b64 s[76:77], vcc
	s_cbranch_execz .LBB10_961
; %bb.958:                              ;   in Loop: Header=BB10_944 Depth=2
	v_mad_u64_u32 v[48:49], s[26:27], v0, 24, v[26:27]
	flat_load_dword v4, v[48:49]
	s_waitcnt vmcnt(0) lgkmcnt(0)
	v_cmp_ne_u32_e32 vcc, 1, v4
	v_cmp_eq_u32_e64 s[26:27], 1, v4
                                        ; implicit-def: $vgpr4_vgpr5
	s_and_saveexec_b64 s[78:79], s[26:27]
	s_cbranch_execz .LBB10_960
; %bb.959:                              ;   in Loop: Header=BB10_944 Depth=2
	flat_load_dword v4, v[48:49] offset:4 glc
	s_waitcnt vmcnt(0) lgkmcnt(0)
	v_ashrrev_i32_e32 v5, 31, v4
.LBB10_960:                             ;   in Loop: Header=BB10_944 Depth=2
	s_or_b64 exec, exec, s[78:79]
	s_orn2_b64 s[26:27], vcc, exec
.LBB10_961:                             ;   in Loop: Header=BB10_944 Depth=2
	s_or_b64 exec, exec, s[76:77]
	s_and_saveexec_b64 s[76:77], s[26:27]
; %bb.962:                              ;   in Loop: Header=BB10_944 Depth=2
	v_mad_i64_i32 v[4:5], s[26:27], v0, v61, 0
; %bb.963:                              ;   in Loop: Header=BB10_944 Depth=2
	s_or_b64 exec, exec, s[76:77]
	v_add_co_u32_e32 v4, vcc, v12, v4
	v_addc_co_u32_e32 v5, vcc, v13, v5, vcc
	ds_write_b64 v0, v[4:5] offset:720
	v_and_b32_e32 v0, 0x2000, v56
	v_cmp_ne_u32_e32 vcc, 0, v0
	s_and_saveexec_b64 s[26:27], vcc
	s_cbranch_execz .LBB10_965
; %bb.964:                              ;   in Loop: Header=BB10_944 Depth=2
	ds_read_b64 v[4:5], v0 offset:872
	s_waitcnt lgkmcnt(0)
	v_add_co_u32_e32 v4, vcc, 1, v4
	v_addc_co_u32_e32 v5, vcc, 0, v5, vcc
	ds_write_b64 v0, v[4:5] offset:872
.LBB10_965:                             ;   in Loop: Header=BB10_944 Depth=2
	s_or_b64 exec, exec, s[26:27]
	v_mov_b32_e32 v49, v3
	v_mov_b32_e32 v48, v2
.LBB10_966:                             ;   in Loop: Header=BB10_944 Depth=2
	s_or_b64 exec, exec, s[74:75]
	s_xor_b64 s[26:27], s[42:43], -1
	s_and_b64 s[26:27], exec, s[26:27]
	s_or_b64 s[40:41], s[26:27], s[40:41]
	s_and_saveexec_b64 s[26:27], s[12:13]
	s_cbranch_execz .LBB10_985
; %bb.967:                              ;   in Loop: Header=BB10_944 Depth=2
	s_and_saveexec_b64 s[42:43], s[58:59]
	s_xor_b64 s[42:43], exec, s[42:43]
	s_cbranch_execz .LBB10_982
; %bb.968:                              ;   in Loop: Header=BB10_944 Depth=2
	s_and_saveexec_b64 s[74:75], s[6:7]
	s_cbranch_execz .LBB10_981
; %bb.969:                              ;   in Loop: Header=BB10_944 Depth=2
	s_mov_b64 s[78:79], exec
	v_mbcnt_lo_u32_b32 v0, s78, 0
	v_mbcnt_hi_u32_b32 v0, s79, v0
	v_cmp_eq_u32_e32 vcc, 0, v0
	s_waitcnt vmcnt(0) lgkmcnt(0)
	buffer_wbinvl1_vol
	s_and_saveexec_b64 s[76:77], vcc
	s_cbranch_execz .LBB10_971
; %bb.970:                              ;   in Loop: Header=BB10_944 Depth=2
	s_bcnt1_i32_b64 s78, s[78:79]
	v_mov_b32_e32 v34, s78
	ds_add_u64 v0, v[34:35]
	s_trap 2
.LBB10_971:                             ;   in Loop: Header=BB10_944 Depth=2
	s_or_b64 exec, exec, s[76:77]
	s_trap 2
	ds_read_b64 v[2:3], v0
	s_waitcnt lgkmcnt(0)
	v_add_co_u32_e32 v14, vcc, v14, v62
	v_addc_co_u32_e32 v15, vcc, 0, v15, vcc
	v_cmp_lt_u64_e32 vcc, v[2:3], v[14:15]
	s_and_saveexec_b64 s[76:77], vcc
	s_cbranch_execz .LBB10_980
; %bb.972:                              ;   in Loop: Header=BB10_944 Depth=2
	s_mov_b32 s30, 0
	s_mov_b64 s[78:79], 0
                                        ; implicit-def: $sgpr88_sgpr89
                                        ; implicit-def: $sgpr90_sgpr91
	s_branch .LBB10_974
.LBB10_973:                             ;   in Loop: Header=BB10_974 Depth=3
	s_or_b64 exec, exec, s[94:95]
	s_and_b64 s[92:93], exec, vcc
	s_or_b64 s[78:79], s[92:93], s[78:79]
	s_andn2_b64 s[88:89], s[88:89], exec
	s_and_b64 s[92:93], s[90:91], exec
	s_or_b64 s[88:89], s[88:89], s[92:93]
	s_andn2_b64 exec, exec, s[78:79]
	s_cbranch_execz .LBB10_978
.LBB10_974:                             ;   Parent Loop BB10_73 Depth=1
                                        ;     Parent Loop BB10_944 Depth=2
                                        ; =>    This Inner Loop Header: Depth=3
	s_add_i32 s30, s30, 1
	s_cmpk_lg_i32 s30, 0x2710
	s_cselect_b64 s[92:93], -1, 0
	s_and_b64 vcc, exec, s[92:93]
	s_cbranch_vccz .LBB10_976
; %bb.975:                              ;   in Loop: Header=BB10_974 Depth=3
	s_mov_b64 vcc, -1
	s_or_b64 s[90:91], s[90:91], exec
	s_and_saveexec_b64 s[94:95], s[92:93]
	s_cbranch_execz .LBB10_973
	s_branch .LBB10_977
.LBB10_976:                             ;   in Loop: Header=BB10_974 Depth=3
	s_trap 2
	ds_read_b64 v[2:3], v0
	s_andn2_b64 s[92:93], s[92:93], exec
	s_mov_b32 s30, 0
	s_waitcnt lgkmcnt(0)
	flat_load_dword v0, v[2:3] glc
	s_waitcnt vmcnt(0) lgkmcnt(0)
	buffer_wbinvl1_vol
	v_cmp_eq_u32_e32 vcc, 0, v0
	s_and_b64 s[94:95], vcc, exec
	s_or_b64 s[92:93], s[92:93], s[94:95]
	s_mov_b64 vcc, -1
	s_or_b64 s[90:91], s[90:91], exec
	s_and_saveexec_b64 s[94:95], s[92:93]
	s_cbranch_execz .LBB10_973
.LBB10_977:                             ;   in Loop: Header=BB10_974 Depth=3
	s_sleep 1
	s_trap 2
	ds_read_b64 v[2:3], v0
	s_waitcnt lgkmcnt(0)
	s_andn2_b64 s[90:91], s[90:91], exec
	v_cmp_ge_u64_e32 vcc, v[2:3], v[14:15]
	s_orn2_b64 vcc, vcc, exec
	s_branch .LBB10_973
.LBB10_978:                             ;   in Loop: Header=BB10_944 Depth=2
	s_or_b64 exec, exec, s[78:79]
	s_and_saveexec_b64 s[78:79], s[88:89]
	s_xor_b64 s[78:79], exec, s[78:79]
	s_cbranch_execz .LBB10_980
; %bb.979:                              ;   in Loop: Header=BB10_944 Depth=2
	ds_write_b32 v0, v46
	s_trap 2
.LBB10_980:                             ;   in Loop: Header=BB10_944 Depth=2
	s_or_b64 exec, exec, s[76:77]
	;;#ASMSTART
	s_wakeup
	;;#ASMEND
.LBB10_981:                             ;   in Loop: Header=BB10_944 Depth=2
	s_or_b64 exec, exec, s[74:75]
.LBB10_982:                             ;   in Loop: Header=BB10_944 Depth=2
	s_andn2_saveexec_b64 s[42:43], s[42:43]
	s_cbranch_execz .LBB10_984
; %bb.983:                              ;   in Loop: Header=BB10_944 Depth=2
	s_waitcnt vmcnt(0) lgkmcnt(0)
	buffer_wbinvl1_vol
	s_barrier
.LBB10_984:                             ;   in Loop: Header=BB10_944 Depth=2
	s_or_b64 exec, exec, s[42:43]
.LBB10_985:                             ;   in Loop: Header=BB10_944 Depth=2
	s_or_b64 exec, exec, s[26:27]
	v_sub_u32_e32 v0, v38, v22
	s_waitcnt vmcnt(0)
	v_min_i32_e32 v55, v55, v0
	s_and_saveexec_b64 s[26:27], s[18:19]
	s_xor_b64 s[26:27], exec, s[26:27]
	s_cbranch_execz .LBB10_989
; %bb.986:                              ;   in Loop: Header=BB10_944 Depth=2
	s_trap 2
	ds_read_b32 v0, v0
	v_cmp_lt_i32_e32 vcc, 0, v55
	s_waitcnt lgkmcnt(0)
	v_readfirstlane_b32 s42, v0
	s_cmp_eq_u32 s42, 0
	s_cselect_b64 s[42:43], -1, 0
	v_and_b32_e32 v0, 16, v56
	s_and_b64 s[42:43], vcc, s[42:43]
	v_cmp_ne_u32_e32 vcc, 0, v0
	s_and_b64 s[74:75], vcc, s[42:43]
	s_and_saveexec_b64 s[42:43], s[74:75]
	s_cbranch_execz .LBB10_988
; %bb.987:                              ;   in Loop: Header=BB10_944 Depth=2
	buffer_wbinvl1_vol
.LBB10_988:                             ;   in Loop: Header=BB10_944 Depth=2
	s_or_b64 exec, exec, s[42:43]
.LBB10_989:                             ;   in Loop: Header=BB10_944 Depth=2
	s_andn2_saveexec_b64 s[26:27], s[26:27]
	s_cbranch_execz .LBB10_1008
; %bb.990:                              ;   in Loop: Header=BB10_944 Depth=2
	s_and_saveexec_b64 s[42:43], s[58:59]
	s_xor_b64 s[42:43], exec, s[42:43]
	s_cbranch_execz .LBB10_1005
; %bb.991:                              ;   in Loop: Header=BB10_944 Depth=2
	s_and_saveexec_b64 s[74:75], s[6:7]
	s_cbranch_execz .LBB10_1004
; %bb.992:                              ;   in Loop: Header=BB10_944 Depth=2
	s_mov_b64 s[78:79], exec
	v_mbcnt_lo_u32_b32 v0, s78, 0
	v_mbcnt_hi_u32_b32 v0, s79, v0
	v_cmp_eq_u32_e32 vcc, 0, v0
	;;#ASMSTART
	s_waitcnt lgkmcnt(0) vmcnt(0)
	;;#ASMEND
	s_and_saveexec_b64 s[76:77], vcc
	s_cbranch_execz .LBB10_994
; %bb.993:                              ;   in Loop: Header=BB10_944 Depth=2
	s_bcnt1_i32_b64 s78, s[78:79]
	v_mov_b32_e32 v34, s78
	s_waitcnt lgkmcnt(0)
	ds_add_u64 v0, v[34:35]
	s_trap 2
.LBB10_994:                             ;   in Loop: Header=BB10_944 Depth=2
	s_or_b64 exec, exec, s[76:77]
	s_trap 2
	ds_read_b64 v[2:3], v0
	s_waitcnt lgkmcnt(0)
	v_add_co_u32_e32 v14, vcc, v14, v62
	v_addc_co_u32_e32 v15, vcc, 0, v15, vcc
	v_cmp_lt_u64_e32 vcc, v[2:3], v[14:15]
	s_and_saveexec_b64 s[76:77], vcc
	s_cbranch_execz .LBB10_1003
; %bb.995:                              ;   in Loop: Header=BB10_944 Depth=2
	s_mov_b32 s30, 0
	s_mov_b64 s[78:79], 0
                                        ; implicit-def: $sgpr88_sgpr89
                                        ; implicit-def: $sgpr90_sgpr91
	s_branch .LBB10_997
.LBB10_996:                             ;   in Loop: Header=BB10_997 Depth=3
	s_or_b64 exec, exec, s[94:95]
	s_and_b64 s[92:93], exec, vcc
	s_or_b64 s[78:79], s[92:93], s[78:79]
	s_andn2_b64 s[88:89], s[88:89], exec
	s_and_b64 s[92:93], s[90:91], exec
	s_or_b64 s[88:89], s[88:89], s[92:93]
	s_andn2_b64 exec, exec, s[78:79]
	s_cbranch_execz .LBB10_1001
.LBB10_997:                             ;   Parent Loop BB10_73 Depth=1
                                        ;     Parent Loop BB10_944 Depth=2
                                        ; =>    This Inner Loop Header: Depth=3
	s_add_i32 s30, s30, 1
	s_cmpk_lg_i32 s30, 0x2710
	s_cselect_b64 s[92:93], -1, 0
	s_and_b64 vcc, exec, s[92:93]
	s_cbranch_vccz .LBB10_999
; %bb.998:                              ;   in Loop: Header=BB10_997 Depth=3
	s_mov_b64 vcc, -1
	s_or_b64 s[90:91], s[90:91], exec
	s_and_saveexec_b64 s[94:95], s[92:93]
	s_cbranch_execz .LBB10_996
	s_branch .LBB10_1000
.LBB10_999:                             ;   in Loop: Header=BB10_997 Depth=3
	s_trap 2
	ds_read_b64 v[2:3], v0
	s_andn2_b64 s[92:93], s[92:93], exec
	s_mov_b32 s30, 0
	s_waitcnt lgkmcnt(0)
	flat_load_dword v0, v[2:3] glc
	s_waitcnt vmcnt(0) lgkmcnt(0)
	buffer_wbinvl1_vol
	v_cmp_eq_u32_e32 vcc, 0, v0
	s_and_b64 s[94:95], vcc, exec
	s_or_b64 s[92:93], s[92:93], s[94:95]
	s_mov_b64 vcc, -1
	s_or_b64 s[90:91], s[90:91], exec
	s_and_saveexec_b64 s[94:95], s[92:93]
	s_cbranch_execz .LBB10_996
.LBB10_1000:                            ;   in Loop: Header=BB10_997 Depth=3
	s_sleep 1
	s_trap 2
	ds_read_b64 v[2:3], v0
	s_waitcnt lgkmcnt(0)
	s_andn2_b64 s[90:91], s[90:91], exec
	v_cmp_ge_u64_e32 vcc, v[2:3], v[14:15]
	s_orn2_b64 vcc, vcc, exec
	s_branch .LBB10_996
.LBB10_1001:                            ;   in Loop: Header=BB10_944 Depth=2
	s_or_b64 exec, exec, s[78:79]
	s_and_saveexec_b64 s[78:79], s[88:89]
	s_xor_b64 s[78:79], exec, s[78:79]
	s_cbranch_execz .LBB10_1003
; %bb.1002:                             ;   in Loop: Header=BB10_944 Depth=2
	ds_write_b32 v0, v46
	s_trap 2
.LBB10_1003:                            ;   in Loop: Header=BB10_944 Depth=2
	s_or_b64 exec, exec, s[76:77]
	;;#ASMSTART
	s_wakeup
	;;#ASMEND
.LBB10_1004:                            ;   in Loop: Header=BB10_944 Depth=2
	s_or_b64 exec, exec, s[74:75]
.LBB10_1005:                            ;   in Loop: Header=BB10_944 Depth=2
	s_andn2_saveexec_b64 s[42:43], s[42:43]
	s_cbranch_execz .LBB10_1007
; %bb.1006:                             ;   in Loop: Header=BB10_944 Depth=2
	;;#ASMSTART
	s_waitcnt lgkmcnt(0) vmcnt(0)
	;;#ASMEND
	s_waitcnt lgkmcnt(0)
	s_barrier
.LBB10_1007:                            ;   in Loop: Header=BB10_944 Depth=2
	s_or_b64 exec, exec, s[42:43]
.LBB10_1008:                            ;   in Loop: Header=BB10_944 Depth=2
	s_or_b64 exec, exec, s[26:27]
	v_and_b32_e32 v0, 32, v56
	v_cmp_ne_u32_e32 vcc, 0, v0
	s_and_saveexec_b64 s[26:27], vcc
	s_cbranch_execz .LBB10_943
; %bb.1009:                             ;   in Loop: Header=BB10_944 Depth=2
	v_add_co_u32_e32 v48, vcc, 2, v48
	v_addc_co_u32_e32 v49, vcc, 0, v49, vcc
	flat_store_dwordx2 v[24:25], v[48:49]
	s_branch .LBB10_943
.LBB10_1010:
	s_or_b64 exec, exec, s[60:61]
	buffer_load_dword v10, off, s[0:3], s33 offset:216 ; 4-byte Folded Reload
	buffer_load_dword v31, off, s[0:3], s33 offset:220 ; 4-byte Folded Reload
	;; [unrolled: 1-line block ×5, first 2 shown]
.LBB10_1011:
	s_or_b64 exec, exec, s[56:57]
	v_and_b32_e32 v0, 0x800, v56
	v_cmp_eq_u32_e32 vcc, 0, v0
	s_and_saveexec_b64 s[6:7], vcc
	s_cbranch_execz .LBB10_1044
; %bb.1012:
	v_and_b32_e32 v0, 48, v56
	v_cmp_ne_u32_e32 vcc, 0, v0
	s_and_saveexec_b64 s[4:5], vcc
	s_cbranch_execz .LBB10_1014
; %bb.1013:
	s_waitcnt vmcnt(0)
	flat_store_dwordx2 v[20:21], v[48:49] offset:104
.LBB10_1014:
	s_or_b64 exec, exec, s[4:5]
	s_movk_i32 s4, 0x88
	v_and_b32_e32 v0, 0x88, v56
	v_cmp_eq_u32_e32 vcc, s4, v0
	s_and_saveexec_b64 s[10:11], vcc
	s_cbranch_execz .LBB10_1024
; %bb.1015:
	v_add_u32_e32 v0, 6, v48
	v_and_b32_e32 v0, 7, v0
	v_mad_u64_u32 v[2:3], s[4:5], v0, 24, v[26:27]
	v_and_b32_e32 v4, 64, v56
	v_cmp_eq_u32_e64 s[4:5], 0, v4
	flat_load_dwordx2 v[0:1], v[2:3] offset:8 glc
	s_waitcnt vmcnt(0)
	s_mov_b32 s22, 0
	s_waitcnt lgkmcnt(0)
	v_cmp_ne_u64_e32 vcc, -1, v[0:1]
	s_and_b64 s[4:5], vcc, s[4:5]
	s_and_b64 exec, exec, s[4:5]
	s_cbranch_execz .LBB10_1024
; %bb.1016:
	s_mov_b64 s[4:5], 0
                                        ; implicit-def: $sgpr12_sgpr13
                                        ; implicit-def: $sgpr14_sgpr15
	s_branch .LBB10_1019
.LBB10_1017:                            ;   in Loop: Header=BB10_1019 Depth=1
	flat_load_dwordx2 v[4:5], v[2:3] offset:8 glc
	s_waitcnt vmcnt(0)
	s_andn2_b64 s[14:15], s[14:15], exec
	s_waitcnt lgkmcnt(0)
	v_cmp_eq_u64_e32 vcc, -1, v[4:5]
	s_orn2_b64 s[18:19], vcc, exec
.LBB10_1018:                            ;   in Loop: Header=BB10_1019 Depth=1
	s_or_b64 exec, exec, s[20:21]
	s_and_b64 s[16:17], exec, s[18:19]
	s_or_b64 s[4:5], s[16:17], s[4:5]
	s_andn2_b64 s[12:13], s[12:13], exec
	s_and_b64 s[16:17], s[14:15], exec
	s_or_b64 s[12:13], s[12:13], s[16:17]
	s_andn2_b64 exec, exec, s[4:5]
	s_cbranch_execz .LBB10_1022
.LBB10_1019:                            ; =>This Inner Loop Header: Depth=1
	s_cmpk_lt_i32 s22, 0x270f
	s_cselect_b64 s[16:17], -1, 0
	s_and_b64 vcc, exec, s[16:17]
	s_cbranch_vccnz .LBB10_1021
; %bb.1020:                             ;   in Loop: Header=BB10_1019 Depth=1
	s_trap 2
	ds_read_b64 v[0:1], v0
	s_andn2_b64 s[16:17], s[16:17], exec
	s_mov_b32 s22, 0
	s_waitcnt lgkmcnt(0)
	flat_load_dword v0, v[0:1] glc
	s_waitcnt vmcnt(0) lgkmcnt(0)
	buffer_wbinvl1_vol
	v_cmp_eq_u32_e32 vcc, 0, v0
	s_and_b64 s[18:19], vcc, exec
	s_or_b64 s[16:17], s[16:17], s[18:19]
	s_mov_b64 s[18:19], -1
	s_or_b64 s[14:15], s[14:15], exec
	s_and_saveexec_b64 s[20:21], s[16:17]
	s_cbranch_execz .LBB10_1018
	s_branch .LBB10_1017
.LBB10_1021:                            ;   in Loop: Header=BB10_1019 Depth=1
	s_add_i32 s22, s22, 1
                                        ; implicit-def: $vgpr0
	s_mov_b64 s[18:19], -1
	s_or_b64 s[14:15], s[14:15], exec
	s_and_saveexec_b64 s[20:21], s[16:17]
	s_cbranch_execz .LBB10_1018
	s_branch .LBB10_1017
.LBB10_1022:
	s_or_b64 exec, exec, s[4:5]
	s_and_saveexec_b64 s[4:5], s[12:13]
	s_xor_b64 s[4:5], exec, s[4:5]
	s_cbranch_execz .LBB10_1024
; %bb.1023:
	ds_write_b32 v0, v0
	s_trap 2
.LBB10_1024:
	s_or_b64 exec, exec, s[10:11]
	v_and_b32_e32 v0, 0x2000, v56
	v_cmp_ne_u32_e32 vcc, 0, v0
	s_and_saveexec_b64 s[4:5], vcc
	s_cbranch_execz .LBB10_1026
; %bb.1025:
	s_trap 2
	ds_read_b64 v[0:1], v0
	buffer_load_dword v2, off, s[0:3], s33 offset:236 ; 4-byte Folded Reload
	buffer_load_dword v3, off, s[0:3], s33 offset:240 ; 4-byte Folded Reload
	s_waitcnt vmcnt(0) lgkmcnt(0)
	flat_store_dwordx2 v[2:3], v[0:1] offset:16
.LBB10_1026:
	s_or_b64 exec, exec, s[4:5]
	s_waitcnt vmcnt(0)
	v_cmp_ne_u32_e32 vcc, 64, v10
	s_and_b64 exec, exec, vcc
	s_cbranch_execz .LBB10_1044
; %bb.1027:
	v_cmp_ne_u32_sdwa s[4:5], v10, v11 src0_sel:DWORD src1_sel:WORD_0
	s_and_saveexec_b64 s[10:11], s[4:5]
	s_xor_b64 s[4:5], exec, s[10:11]
	s_cbranch_execz .LBB10_1042
; %bb.1028:
	v_and_b32_e32 v0, 63, v31
	v_cmp_eq_u32_e32 vcc, 0, v0
	s_and_saveexec_b64 s[10:11], vcc
	s_cbranch_execz .LBB10_1041
; %bb.1029:
	s_mov_b64 s[14:15], exec
	v_mbcnt_lo_u32_b32 v0, s14, 0
	v_mbcnt_hi_u32_b32 v0, s15, v0
	v_cmp_eq_u32_e32 vcc, 0, v0
	s_waitcnt lgkmcnt(0)
	buffer_wbinvl1_vol
	s_and_saveexec_b64 s[12:13], vcc
	s_cbranch_execz .LBB10_1031
; %bb.1030:
	s_bcnt1_i32_b64 s14, s[14:15]
	v_mov_b32_e32 v0, s14
	v_mov_b32_e32 v1, 0
	ds_add_u64 v0, v[0:1]
	s_trap 2
.LBB10_1031:
	s_or_b64 exec, exec, s[12:13]
	v_lshrrev_b32_e32 v0, 6, v10
	s_trap 2
	ds_read_b64 v[2:3], v0
	s_waitcnt lgkmcnt(0)
	v_add_co_u32_e32 v0, vcc, v14, v0
	v_addc_co_u32_e32 v1, vcc, 0, v15, vcc
	v_cmp_lt_u64_e32 vcc, v[2:3], v[0:1]
	s_and_saveexec_b64 s[12:13], vcc
	s_cbranch_execz .LBB10_1040
; %bb.1032:
	s_mov_b32 s26, 0
	s_mov_b64 s[14:15], 0
                                        ; implicit-def: $sgpr16_sgpr17
                                        ; implicit-def: $sgpr18_sgpr19
	s_branch .LBB10_1034
.LBB10_1033:                            ;   in Loop: Header=BB10_1034 Depth=1
	s_or_b64 exec, exec, s[22:23]
	s_and_b64 s[20:21], exec, s[24:25]
	s_or_b64 s[14:15], s[20:21], s[14:15]
	s_andn2_b64 s[16:17], s[16:17], exec
	s_and_b64 s[20:21], s[18:19], exec
	s_or_b64 s[16:17], s[16:17], s[20:21]
	s_andn2_b64 exec, exec, s[14:15]
	s_cbranch_execz .LBB10_1038
.LBB10_1034:                            ; =>This Inner Loop Header: Depth=1
	s_add_i32 s26, s26, 1
	s_cmpk_lg_i32 s26, 0x2710
	s_cselect_b64 s[20:21], -1, 0
	s_and_b64 vcc, exec, s[20:21]
	s_cbranch_vccz .LBB10_1036
; %bb.1035:                             ;   in Loop: Header=BB10_1034 Depth=1
	s_mov_b64 s[24:25], -1
	s_or_b64 s[18:19], s[18:19], exec
	s_and_saveexec_b64 s[22:23], s[20:21]
	s_cbranch_execz .LBB10_1033
	s_branch .LBB10_1037
.LBB10_1036:                            ;   in Loop: Header=BB10_1034 Depth=1
	s_trap 2
	ds_read_b64 v[2:3], v0
	s_andn2_b64 s[20:21], s[20:21], exec
	s_mov_b32 s26, 0
	s_waitcnt lgkmcnt(0)
	flat_load_dword v2, v[2:3] glc
	s_waitcnt vmcnt(0) lgkmcnt(0)
	buffer_wbinvl1_vol
	v_cmp_eq_u32_e32 vcc, 0, v2
	s_and_b64 s[22:23], vcc, exec
	s_or_b64 s[20:21], s[20:21], s[22:23]
	s_mov_b64 s[24:25], -1
	s_or_b64 s[18:19], s[18:19], exec
	s_and_saveexec_b64 s[22:23], s[20:21]
	s_cbranch_execz .LBB10_1033
.LBB10_1037:                            ;   in Loop: Header=BB10_1034 Depth=1
	s_sleep 1
	s_trap 2
	ds_read_b64 v[2:3], v0
	s_waitcnt lgkmcnt(0)
	s_andn2_b64 s[18:19], s[18:19], exec
	v_cmp_ge_u64_e32 vcc, v[2:3], v[0:1]
	s_orn2_b64 s[24:25], vcc, exec
	s_branch .LBB10_1033
.LBB10_1038:
	s_or_b64 exec, exec, s[14:15]
	s_and_saveexec_b64 s[14:15], s[16:17]
	s_xor_b64 s[14:15], exec, s[14:15]
	s_cbranch_execz .LBB10_1040
; %bb.1039:
	v_mov_b32_e32 v0, 1
	ds_write_b32 v0, v0
	s_trap 2
.LBB10_1040:
	s_or_b64 exec, exec, s[12:13]
	;;#ASMSTART
	s_wakeup
	;;#ASMEND
.LBB10_1041:
	s_or_b64 exec, exec, s[10:11]
.LBB10_1042:
	s_andn2_saveexec_b64 s[4:5], s[4:5]
	s_cbranch_execz .LBB10_1044
; %bb.1043:
	s_waitcnt lgkmcnt(0)
	buffer_wbinvl1_vol
	s_barrier
.LBB10_1044:
	s_or_b64 exec, exec, s[6:7]
.LBB10_1045:
	s_andn2_saveexec_b64 s[26:27], s[46:47]
	s_cbranch_execz .LBB10_1047
; %bb.1046:
	s_getpc_b64 s[4:5]
	s_add_u32 s4, s4, __PRETTY_FUNCTION__._ZN10PrimitivesIa7FuncSumIaE12FanSymmetricILi1EELi0E11ProtoSimpleILi2ELi2ELi0ELi2ELi0ELi0EELi0ELb0ELi0ELi0ELi0EEC2EiiPKiS8_PKvPvmhhhP15ncclDevWorkCollP14ncclDevWorkP2pii@rel32@lo+4
	s_addc_u32 s5, s5, __PRETTY_FUNCTION__._ZN10PrimitivesIa7FuncSumIaE12FanSymmetricILi1EELi0E11ProtoSimpleILi2ELi2ELi0ELi2ELi0ELi0EELi0ELb0ELi0ELi0ELi0EEC2EiiPKiS8_PKvPvmhhhP15ncclDevWorkCollP14ncclDevWorkP2pii@rel32@hi+12
	s_getpc_b64 s[6:7]
	s_add_u32 s6, s6, __assert_fail@rel32@lo+4
	s_addc_u32 s7, s7, __assert_fail@rel32@hi+12
	v_mov_b32_e32 v0, s4
	v_mov_b32_e32 v1, s5
	s_swappc_b64 s[30:31], s[6:7]
	; divergent unreachable
.LBB10_1047:
	s_or_b64 exec, exec, s[26:27]
.LBB10_1048:
	s_or_b64 exec, exec, s[44:45]
	buffer_load_dword v62, off, s[0:3], s33 ; 4-byte Folded Reload
	buffer_load_dword v61, off, s[0:3], s33 offset:4 ; 4-byte Folded Reload
	buffer_load_dword v60, off, s[0:3], s33 offset:8 ; 4-byte Folded Reload
	;; [unrolled: 1-line block ×14, first 2 shown]
	v_readlane_b32 s30, v63, 17
	v_readlane_b32 s31, v63, 18
	;; [unrolled: 1-line block ×19, first 2 shown]
	s_mov_b32 s32, s33
	v_readlane_b32 s4, v63, 19
	s_or_saveexec_b64 s[6:7], -1
	buffer_load_dword v63, off, s[0:3], s33 offset:244 ; 4-byte Folded Reload
	s_mov_b64 exec, s[6:7]
	s_mov_b32 s33, s4
	s_waitcnt vmcnt(0) lgkmcnt(0)
	s_setpc_b64 s[30:31]
.Lfunc_end10:
	.size	_ZN12_GLOBAL__N_17runRingIa7FuncSumIaE11ProtoSimpleILi2ELi2ELi0ELi2ELi0ELi0EELi0ELi2ELi0ELb0EEEviiP15ncclDevWorkColl, .Lfunc_end10-_ZN12_GLOBAL__N_17runRingIa7FuncSumIaE11ProtoSimpleILi2ELi2ELi0ELi2ELi0ELi0EELi0ELi2ELi0ELb0EEEviiP15ncclDevWorkColl
                                        ; -- End function
	.set .L_ZN12_GLOBAL__N_17runRingIa7FuncSumIaE11ProtoSimpleILi2ELi2ELi0ELi2ELi0ELi0EELi0ELi2ELi0ELb0EEEviiP15ncclDevWorkColl.num_vgpr, max(64, .L__assert_fail.num_vgpr)
	.set .L_ZN12_GLOBAL__N_17runRingIa7FuncSumIaE11ProtoSimpleILi2ELi2ELi0ELi2ELi0ELi0EELi0ELi2ELi0ELb0EEEviiP15ncclDevWorkColl.num_agpr, max(0, .L__assert_fail.num_agpr)
	.set .L_ZN12_GLOBAL__N_17runRingIa7FuncSumIaE11ProtoSimpleILi2ELi2ELi0ELi2ELi0ELi0EELi0ELi2ELi0ELb0EEEviiP15ncclDevWorkColl.numbered_sgpr, max(96, .L__assert_fail.numbered_sgpr)
	.set .L_ZN12_GLOBAL__N_17runRingIa7FuncSumIaE11ProtoSimpleILi2ELi2ELi0ELi2ELi0ELi0EELi0ELi2ELi0ELb0EEEviiP15ncclDevWorkColl.num_named_barrier, max(0, .L__assert_fail.num_named_barrier)
	.set .L_ZN12_GLOBAL__N_17runRingIa7FuncSumIaE11ProtoSimpleILi2ELi2ELi0ELi2ELi0ELi0EELi0ELi2ELi0ELb0EEEviiP15ncclDevWorkColl.private_seg_size, 256+max(.L__assert_fail.private_seg_size)
	.set .L_ZN12_GLOBAL__N_17runRingIa7FuncSumIaE11ProtoSimpleILi2ELi2ELi0ELi2ELi0ELi0EELi0ELi2ELi0ELb0EEEviiP15ncclDevWorkColl.uses_vcc, or(1, .L__assert_fail.uses_vcc)
	.set .L_ZN12_GLOBAL__N_17runRingIa7FuncSumIaE11ProtoSimpleILi2ELi2ELi0ELi2ELi0ELi0EELi0ELi2ELi0ELb0EEEviiP15ncclDevWorkColl.uses_flat_scratch, or(0, .L__assert_fail.uses_flat_scratch)
	.set .L_ZN12_GLOBAL__N_17runRingIa7FuncSumIaE11ProtoSimpleILi2ELi2ELi0ELi2ELi0ELi0EELi0ELi2ELi0ELb0EEEviiP15ncclDevWorkColl.has_dyn_sized_stack, or(0, .L__assert_fail.has_dyn_sized_stack)
	.set .L_ZN12_GLOBAL__N_17runRingIa7FuncSumIaE11ProtoSimpleILi2ELi2ELi0ELi2ELi0ELi0EELi0ELi2ELi0ELb0EEEviiP15ncclDevWorkColl.has_recursion, or(1, .L__assert_fail.has_recursion)
	.set .L_ZN12_GLOBAL__N_17runRingIa7FuncSumIaE11ProtoSimpleILi2ELi2ELi0ELi2ELi0ELi0EELi0ELi2ELi0ELb0EEEviiP15ncclDevWorkColl.has_indirect_call, or(0, .L__assert_fail.has_indirect_call)
	.section	.AMDGPU.csdata,"",@progbits
; Function info:
; codeLenInByte = 33144
; TotalNumSgprs: 100
; NumVgprs: 64
; ScratchSize: 320
; MemoryBound: 0
	.text
	.p2align	2                               ; -- Begin function _Z46ncclDevFunc_AllGather_RING_SIMPLE_Sum_i8_0_0_2v
	.type	_Z46ncclDevFunc_AllGather_RING_SIMPLE_Sum_i8_0_0_2v,@function
_Z46ncclDevFunc_AllGather_RING_SIMPLE_Sum_i8_0_0_2v: ; @_Z46ncclDevFunc_AllGather_RING_SIMPLE_Sum_i8_0_0_2v
; %bb.0:
	s_waitcnt vmcnt(0) expcnt(0) lgkmcnt(0)
	s_mov_b32 s4, s33
	s_mov_b32 s33, s32
	s_or_saveexec_b64 s[6:7], -1
	buffer_store_dword v43, off, s[0:3], s33 offset:16 ; 4-byte Folded Spill
	s_mov_b64 exec, s[6:7]
	v_writelane_b32 v43, s4, 25
	s_addk_i32 s32, 0x800
	buffer_store_dword v40, off, s[0:3], s33 offset:12 ; 4-byte Folded Spill
	buffer_store_dword v41, off, s[0:3], s33 offset:8 ; 4-byte Folded Spill
	;; [unrolled: 1-line block ×3, first 2 shown]
	buffer_store_dword v63, off, s[0:3], s33 ; 4-byte Folded Spill
	v_writelane_b32 v43, s34, 0
	v_writelane_b32 v43, s35, 1
	;; [unrolled: 1-line block ×25, first 2 shown]
	s_trap 2
	ds_read_b32 v0, v0
	v_mov_b32_e32 v40, v31
	s_mov_b32 s67, s12
	s_mov_b64 s[68:69], s[8:9]
	s_waitcnt lgkmcnt(0)
	v_cmp_gt_i32_e32 vcc, 1, v0
	s_cbranch_vccnz .LBB11_8
; %bb.1:
	s_mov_b32 s80, 0
	v_and_b32_e32 v41, 0x3ff, v40
	v_mov_b32_e32 v42, 6
	s_branch .LBB11_3
.LBB11_2:                               ;   in Loop: Header=BB11_3 Depth=1
	s_or_b64 exec, exec, s[70:71]
	s_trap 2
	ds_read_b32 v0, v0
	s_add_i32 s80, s80, 1
	s_waitcnt lgkmcnt(0)
	v_cmp_lt_i32_e32 vcc, s80, v0
	s_cbranch_vccz .LBB11_8
.LBB11_3:                               ; =>This Inner Loop Header: Depth=1
	s_trap 2
	ds_read_b32 v0, v0
	s_cmp_eq_u32 s80, 0
	s_cbranch_scc1 .LBB11_6
; %bb.4:                                ;   in Loop: Header=BB11_3 Depth=1
	s_trap 2
	s_waitcnt lgkmcnt(0)
	ds_read_b32 v1, v0
	s_waitcnt lgkmcnt(0)
	v_xor_b32_e32 v1, v1, v0
	v_and_b32_e32 v1, 0xff0000, v1
	v_cmp_eq_u32_e32 vcc, 0, v1
	s_cbranch_vccnz .LBB11_6
; %bb.5:                                ;   in Loop: Header=BB11_3 Depth=1
	s_waitcnt vmcnt(0)
	s_barrier
	ds_read_b32 v0, v0
.LBB11_6:                               ;   in Loop: Header=BB11_3 Depth=1
	s_waitcnt lgkmcnt(0)
	v_lshlrev_b32_sdwa v1, v42, v0 dst_sel:DWORD dst_unused:UNUSED_PAD src0_sel:DWORD src1_sel:BYTE_2
	v_cmp_lt_u32_e32 vcc, v41, v1
	s_and_saveexec_b64 s[70:71], vcc
	s_cbranch_execz .LBB11_2
; %bb.7:                                ;   in Loop: Header=BB11_3 Depth=1
	s_mov_b64 s[4:5], src_shared_base
	s_getpc_b64 s[6:7]
	s_add_u32 s6, s6, _ZN12_GLOBAL__N_17runRingIa7FuncSumIaE11ProtoSimpleILi2ELi2ELi0ELi2ELi0ELi0EELi0ELi2ELi0ELb0EEEviiP15ncclDevWorkColl@rel32@lo+4
	s_addc_u32 s7, s7, _ZN12_GLOBAL__N_17runRingIa7FuncSumIaE11ProtoSimpleILi2ELi2ELi0ELi2ELi0ELi0EELi0ELi2ELi0ELb0EEEviiP15ncclDevWorkColl@rel32@hi+12
	s_mov_b64 s[8:9], s[68:69]
	s_mov_b32 s12, s67
	v_mov_b32_e32 v31, v40
	v_mov_b32_e32 v0, v41
	;; [unrolled: 1-line block ×3, first 2 shown]
	s_swappc_b64 s[30:31], s[6:7]
	s_branch .LBB11_2
.LBB11_8:
	buffer_load_dword v63, off, s[0:3], s33 ; 4-byte Folded Reload
	buffer_load_dword v42, off, s[0:3], s33 offset:4 ; 4-byte Folded Reload
	buffer_load_dword v41, off, s[0:3], s33 offset:8 ; 4-byte Folded Reload
	;; [unrolled: 1-line block ×3, first 2 shown]
	v_readlane_b32 s30, v43, 23
	v_readlane_b32 s31, v43, 24
	;; [unrolled: 1-line block ×25, first 2 shown]
	s_mov_b32 s32, s33
	v_readlane_b32 s4, v43, 25
	s_or_saveexec_b64 s[6:7], -1
	buffer_load_dword v43, off, s[0:3], s33 offset:16 ; 4-byte Folded Reload
	s_mov_b64 exec, s[6:7]
	s_mov_b32 s33, s4
	s_waitcnt vmcnt(0)
	s_setpc_b64 s[30:31]
.Lfunc_end11:
	.size	_Z46ncclDevFunc_AllGather_RING_SIMPLE_Sum_i8_0_0_2v, .Lfunc_end11-_Z46ncclDevFunc_AllGather_RING_SIMPLE_Sum_i8_0_0_2v
                                        ; -- End function
	.set .L_Z46ncclDevFunc_AllGather_RING_SIMPLE_Sum_i8_0_0_2v.num_vgpr, max(64, .L_ZN12_GLOBAL__N_17runRingIa7FuncSumIaE11ProtoSimpleILi2ELi2ELi0ELi2ELi0ELi0EELi0ELi2ELi0ELb0EEEviiP15ncclDevWorkColl.num_vgpr)
	.set .L_Z46ncclDevFunc_AllGather_RING_SIMPLE_Sum_i8_0_0_2v.num_agpr, max(0, .L_ZN12_GLOBAL__N_17runRingIa7FuncSumIaE11ProtoSimpleILi2ELi2ELi0ELi2ELi0ELi0EELi0ELi2ELi0ELb0EEEviiP15ncclDevWorkColl.num_agpr)
	.set .L_Z46ncclDevFunc_AllGather_RING_SIMPLE_Sum_i8_0_0_2v.numbered_sgpr, max(81, .L_ZN12_GLOBAL__N_17runRingIa7FuncSumIaE11ProtoSimpleILi2ELi2ELi0ELi2ELi0ELi0EELi0ELi2ELi0ELb0EEEviiP15ncclDevWorkColl.numbered_sgpr)
	.set .L_Z46ncclDevFunc_AllGather_RING_SIMPLE_Sum_i8_0_0_2v.num_named_barrier, max(0, .L_ZN12_GLOBAL__N_17runRingIa7FuncSumIaE11ProtoSimpleILi2ELi2ELi0ELi2ELi0ELi0EELi0ELi2ELi0ELb0EEEviiP15ncclDevWorkColl.num_named_barrier)
	.set .L_Z46ncclDevFunc_AllGather_RING_SIMPLE_Sum_i8_0_0_2v.private_seg_size, 32+max(.L_ZN12_GLOBAL__N_17runRingIa7FuncSumIaE11ProtoSimpleILi2ELi2ELi0ELi2ELi0ELi0EELi0ELi2ELi0ELb0EEEviiP15ncclDevWorkColl.private_seg_size)
	.set .L_Z46ncclDevFunc_AllGather_RING_SIMPLE_Sum_i8_0_0_2v.uses_vcc, or(1, .L_ZN12_GLOBAL__N_17runRingIa7FuncSumIaE11ProtoSimpleILi2ELi2ELi0ELi2ELi0ELi0EELi0ELi2ELi0ELb0EEEviiP15ncclDevWorkColl.uses_vcc)
	.set .L_Z46ncclDevFunc_AllGather_RING_SIMPLE_Sum_i8_0_0_2v.uses_flat_scratch, or(0, .L_ZN12_GLOBAL__N_17runRingIa7FuncSumIaE11ProtoSimpleILi2ELi2ELi0ELi2ELi0ELi0EELi0ELi2ELi0ELb0EEEviiP15ncclDevWorkColl.uses_flat_scratch)
	.set .L_Z46ncclDevFunc_AllGather_RING_SIMPLE_Sum_i8_0_0_2v.has_dyn_sized_stack, or(0, .L_ZN12_GLOBAL__N_17runRingIa7FuncSumIaE11ProtoSimpleILi2ELi2ELi0ELi2ELi0ELi0EELi0ELi2ELi0ELb0EEEviiP15ncclDevWorkColl.has_dyn_sized_stack)
	.set .L_Z46ncclDevFunc_AllGather_RING_SIMPLE_Sum_i8_0_0_2v.has_recursion, or(1, .L_ZN12_GLOBAL__N_17runRingIa7FuncSumIaE11ProtoSimpleILi2ELi2ELi0ELi2ELi0ELi0EELi0ELi2ELi0ELb0EEEviiP15ncclDevWorkColl.has_recursion)
	.set .L_Z46ncclDevFunc_AllGather_RING_SIMPLE_Sum_i8_0_0_2v.has_indirect_call, or(0, .L_ZN12_GLOBAL__N_17runRingIa7FuncSumIaE11ProtoSimpleILi2ELi2ELi0ELi2ELi0ELi0EELi0ELi2ELi0ELb0EEEviiP15ncclDevWorkColl.has_indirect_call)
	.section	.AMDGPU.csdata,"",@progbits
; Function info:
; codeLenInByte = 784
; TotalNumSgprs: 100
; NumVgprs: 64
; ScratchSize: 352
; MemoryBound: 0
	.text
	.p2align	2                               ; -- Begin function _Z41ncclDevFunc_AllGather_PAT_LL_Sum_i8_0_0_2v
	.type	_Z41ncclDevFunc_AllGather_PAT_LL_Sum_i8_0_0_2v,@function
_Z41ncclDevFunc_AllGather_PAT_LL_Sum_i8_0_0_2v: ; @_Z41ncclDevFunc_AllGather_PAT_LL_Sum_i8_0_0_2v
; %bb.0:
	s_waitcnt vmcnt(0) expcnt(0) lgkmcnt(0)
	s_trap 2
	ds_read_b32 v0, v0
	s_waitcnt lgkmcnt(0)
	v_cmp_gt_i32_e32 vcc, 1, v0
	s_cbranch_vccnz .LBB12_6
; %bb.1:
	s_mov_b32 s4, 0
	s_branch .LBB12_3
.LBB12_2:                               ;   in Loop: Header=BB12_3 Depth=1
	s_add_i32 s4, s4, 1
	s_waitcnt lgkmcnt(0)
	v_cmp_lt_i32_e32 vcc, s4, v0
	s_cbranch_vccz .LBB12_6
.LBB12_3:                               ; =>This Inner Loop Header: Depth=1
	s_cmp_eq_u32 s4, 0
	s_cbranch_scc1 .LBB12_2
; %bb.4:                                ;   in Loop: Header=BB12_3 Depth=1
	s_trap 2
	ds_read_b32 v1, v0
	s_waitcnt lgkmcnt(0)
	v_xor_b32_e32 v1, v1, v1
	v_and_b32_e32 v1, 0xff0000, v1
	v_cmp_eq_u32_e32 vcc, 0, v1
	s_cbranch_vccnz .LBB12_2
; %bb.5:                                ;   in Loop: Header=BB12_3 Depth=1
	s_barrier
	s_trap 2
	ds_read_b32 v0, v0
	s_branch .LBB12_2
.LBB12_6:
	s_setpc_b64 s[30:31]
.Lfunc_end12:
	.size	_Z41ncclDevFunc_AllGather_PAT_LL_Sum_i8_0_0_2v, .Lfunc_end12-_Z41ncclDevFunc_AllGather_PAT_LL_Sum_i8_0_0_2v
                                        ; -- End function
	.set .L_Z41ncclDevFunc_AllGather_PAT_LL_Sum_i8_0_0_2v.num_vgpr, 2
	.set .L_Z41ncclDevFunc_AllGather_PAT_LL_Sum_i8_0_0_2v.num_agpr, 0
	.set .L_Z41ncclDevFunc_AllGather_PAT_LL_Sum_i8_0_0_2v.numbered_sgpr, 32
	.set .L_Z41ncclDevFunc_AllGather_PAT_LL_Sum_i8_0_0_2v.num_named_barrier, 0
	.set .L_Z41ncclDevFunc_AllGather_PAT_LL_Sum_i8_0_0_2v.private_seg_size, 0
	.set .L_Z41ncclDevFunc_AllGather_PAT_LL_Sum_i8_0_0_2v.uses_vcc, 1
	.set .L_Z41ncclDevFunc_AllGather_PAT_LL_Sum_i8_0_0_2v.uses_flat_scratch, 0
	.set .L_Z41ncclDevFunc_AllGather_PAT_LL_Sum_i8_0_0_2v.has_dyn_sized_stack, 0
	.set .L_Z41ncclDevFunc_AllGather_PAT_LL_Sum_i8_0_0_2v.has_recursion, 0
	.set .L_Z41ncclDevFunc_AllGather_PAT_LL_Sum_i8_0_0_2v.has_indirect_call, 0
	.section	.AMDGPU.csdata,"",@progbits
; Function info:
; codeLenInByte = 120
; TotalNumSgprs: 36
; NumVgprs: 2
; ScratchSize: 0
; MemoryBound: 0
	.text
	.p2align	2                               ; -- Begin function _Z45ncclDevFunc_AllGather_PAT_SIMPLE_Sum_i8_0_0_2v
	.type	_Z45ncclDevFunc_AllGather_PAT_SIMPLE_Sum_i8_0_0_2v,@function
_Z45ncclDevFunc_AllGather_PAT_SIMPLE_Sum_i8_0_0_2v: ; @_Z45ncclDevFunc_AllGather_PAT_SIMPLE_Sum_i8_0_0_2v
; %bb.0:
	s_waitcnt vmcnt(0) expcnt(0) lgkmcnt(0)
	s_or_saveexec_b64 s[4:5], -1
	buffer_store_dword v63, off, s[0:3], s32 offset:420 ; 4-byte Folded Spill
	s_mov_b64 exec, s[4:5]
	buffer_store_dword v40, off, s[0:3], s32 offset:56 ; 4-byte Folded Spill
	buffer_store_dword v41, off, s[0:3], s32 offset:52 ; 4-byte Folded Spill
	;; [unrolled: 1-line block ×14, first 2 shown]
	buffer_store_dword v62, off, s[0:3], s32 ; 4-byte Folded Spill
	v_writelane_b32 v63, s34, 0
	v_writelane_b32 v63, s35, 1
	;; [unrolled: 1-line block ×24, first 2 shown]
	s_trap 2
	ds_read_b32 v0, v0
	s_waitcnt lgkmcnt(0)
	v_cmp_gt_i32_e32 vcc, 1, v0
	s_cbranch_vccnz .LBB13_381
; %bb.1:
	s_load_dword s4, s[8:9], 0x0
	v_mov_b32_e32 v18, 0
	v_and_b32_e32 v33, 0x3ff, v31
	s_mov_b32 s40, 0
	s_brev_b32 s41, 1
	s_waitcnt lgkmcnt(0)
	s_cmp_lt_u32 s12, s4
	s_cselect_b32 s4, 12, 18
	s_add_u32 s4, s8, s4
	s_addc_u32 s5, s9, 0
	global_load_ushort v0, v18, s[4:5]
	s_movk_i32 s12, 0x80
	s_lshr_b32 s16, s32, 6
	v_cmp_gt_u32_e64 s[4:5], 32, v33
	v_cmp_eq_u32_e64 s[6:7], 0, v33
	v_cmp_eq_u32_e64 s[8:9], s12, v33
	v_cmp_ne_u32_e64 s[10:11], s12, v33
	v_cmp_gt_u32_e64 s[12:13], s12, v33
	s_add_i32 s34, s16, 0x98
	s_movk_i32 s35, 0xe00
	s_addk_i32 s36, 0x700
	v_mov_b32_e32 v48, 1
	s_mov_b32 s37, 0x43000000
	s_movk_i32 s38, 0xffc0
	s_movk_i32 s39, 0xfc40
	s_movk_i32 s48, 0xfc80
	s_movk_i32 s49, 0xfcc0
	s_movk_i32 s50, 0xfd00
	s_movk_i32 s51, 0xfd40
	s_movk_i32 s52, 0xfd80
	s_movk_i32 s53, 0xfdc0
	s_movk_i32 s54, 0xfe00
	s_movk_i32 s55, 0xfe40
	s_movk_i32 s64, 0xfe80
	s_movk_i32 s65, 0xfec0
	s_movk_i32 s66, 0x88
	v_mov_b32_e32 v37, 2
	v_mov_b32_e32 v38, -1
	s_movk_i32 s67, 0x1f8
	s_mov_b32 s68, s40
	s_waitcnt vmcnt(0)
	buffer_store_dword v0, off, s[0:3], s32 offset:412 ; 4-byte Folded Spill
	v_and_b32_e32 v0, 63, v31
	v_cmp_eq_u32_e64 s[14:15], 0, v0
	v_cvt_f32_i32_e32 v0, v33
	buffer_store_dword v0, off, s[0:3], s32 offset:416 ; 4-byte Folded Spill
	s_trap 2
	buffer_store_dword v33, off, s[0:3], s32 offset:408 ; 4-byte Folded Spill
	s_branch .LBB13_4
.LBB13_2:                               ;   in Loop: Header=BB13_4 Depth=1
	s_or_b64 exec, exec, s[24:25]
.LBB13_3:                               ;   in Loop: Header=BB13_4 Depth=1
	s_or_b64 exec, exec, s[42:43]
	s_trap 2
	ds_read_b32 v0, v0
	s_add_i32 s68, s68, 1
	s_waitcnt lgkmcnt(0)
	v_cmp_lt_i32_e32 vcc, s68, v0
	s_cbranch_vccz .LBB13_381
.LBB13_4:                               ; =>This Loop Header: Depth=1
                                        ;     Child Loop BB13_18 Depth 2
                                        ;     Child Loop BB13_26 Depth 2
	;; [unrolled: 1-line block ×4, first 2 shown]
                                        ;       Child Loop BB13_54 Depth 3
                                        ;       Child Loop BB13_86 Depth 3
                                        ;       Child Loop BB13_160 Depth 3
                                        ;       Child Loop BB13_73 Depth 3
                                        ;       Child Loop BB13_103 Depth 3
                                        ;       Child Loop BB13_133 Depth 3
                                        ;       Child Loop BB13_140 Depth 3
                                        ;       Child Loop BB13_147 Depth 3
                                        ;       Child Loop BB13_180 Depth 3
                                        ;       Child Loop BB13_187 Depth 3
                                        ;       Child Loop BB13_209 Depth 3
                                        ;       Child Loop BB13_219 Depth 3
                                        ;     Child Loop BB13_236 Depth 2
                                        ;     Child Loop BB13_248 Depth 2
	;; [unrolled: 1-line block ×6, first 2 shown]
                                        ;       Child Loop BB13_289 Depth 3
                                        ;       Child Loop BB13_346 Depth 3
	;; [unrolled: 1-line block ×4, first 2 shown]
	s_trap 2
	ds_read_b32 v8, v0
	s_cmp_eq_u32 s68, 0
	s_cbranch_scc1 .LBB13_7
; %bb.5:                                ;   in Loop: Header=BB13_4 Depth=1
	s_trap 2
	ds_read_b32 v0, v0
	s_waitcnt lgkmcnt(0)
	v_xor_b32_e32 v0, v0, v8
	v_and_b32_e32 v0, 0xff0000, v0
	v_cmp_eq_u32_e32 vcc, 0, v0
	s_cbranch_vccnz .LBB13_7
; %bb.6:                                ;   in Loop: Header=BB13_4 Depth=1
	s_waitcnt vmcnt(0)
	s_barrier
	s_trap 2
	ds_read_b32 v8, v0
.LBB13_7:                               ;   in Loop: Header=BB13_4 Depth=1
	s_waitcnt lgkmcnt(0)
	v_bfe_u32 v13, v8, 16, 8
	v_lshlrev_b32_e32 v12, 6, v13
	s_waitcnt vmcnt(0)
	v_cmp_lt_u32_e32 vcc, v33, v12
	s_and_saveexec_b64 s[42:43], vcc
	s_cbranch_execz .LBB13_3
; %bb.8:                                ;   in Loop: Header=BB13_4 Depth=1
	s_trap 2
	ds_read2_b64 v[0:3], v0 offset1:1
	v_not_b32_sdwa v10, v8 dst_sel:DWORD dst_unused:UNUSED_PAD src0_sel:BYTE_0
	v_add_u32_sdwa v6, v8, v10 dst_sel:DWORD dst_unused:UNUSED_PAD src0_sel:BYTE_1 src1_sel:DWORD
	v_ashrrev_i32_e32 v7, 31, v6
	s_waitcnt lgkmcnt(0)
	ds_read_b64 v[4:5], v0
	ds_read_b32 v9, v0
	v_mul_lo_u32 v7, v2, v7
	v_mul_hi_u32 v11, v2, v6
	v_mul_lo_u32 v14, v3, v6
	v_mul_lo_u32 v6, v2, v6
	s_waitcnt lgkmcnt(0)
	v_cmp_ne_u32_sdwa s[16:17], v9, v8 src0_sel:DWORD src1_sel:BYTE_0
	v_add_u32_e32 v7, v11, v7
	v_add_u32_e32 v7, v7, v14
	s_and_b64 vcc, exec, s[16:17]
	v_add_co_u32_e64 v6, s[16:17], v6, v0
	v_readfirstlane_b32 s70, v4
	v_readfirstlane_b32 s69, v5
	v_addc_co_u32_e64 v7, s[16:17], v7, v1, s[16:17]
	s_cbranch_vccz .LBB13_11
; %bb.9:                                ;   in Loop: Header=BB13_4 Depth=1
	v_cmp_ne_u32_sdwa s[16:17], v9, v8 src0_sel:DWORD src1_sel:BYTE_1
	s_and_b64 vcc, exec, s[16:17]
	s_cbranch_vccz .LBB13_12
; %bb.10:                               ;   in Loop: Header=BB13_4 Depth=1
	v_add_u32_e32 v8, v9, v10
	v_ashrrev_i32_e32 v9, 31, v8
	v_mul_lo_u32 v9, v2, v9
	v_mul_hi_u32 v10, v2, v8
	v_mul_lo_u32 v11, v3, v8
	v_mul_lo_u32 v8, v2, v8
	s_trap 2
	v_add_u32_e32 v9, v10, v9
	v_add_u32_e32 v9, v9, v11
	ds_read_b64 v[10:11], v0
	v_add_co_u32_e32 v8, vcc, v8, v0
	v_addc_co_u32_e32 v9, vcc, v9, v1, vcc
	s_waitcnt lgkmcnt(0)
	v_lshrrev_b64 v[10:11], 12, v[10:11]
	s_cbranch_execz .LBB13_13
	s_branch .LBB13_14
.LBB13_11:                              ;   in Loop: Header=BB13_4 Depth=1
                                        ; implicit-def: $vgpr10_vgpr11
                                        ; implicit-def: $vgpr8_vgpr9
	s_branch .LBB13_15
.LBB13_12:                              ;   in Loop: Header=BB13_4 Depth=1
                                        ; implicit-def: $vgpr10_vgpr11
                                        ; implicit-def: $vgpr8_vgpr9
.LBB13_13:                              ;   in Loop: Header=BB13_4 Depth=1
	s_trap 2
	ds_read_b32 v2, v0
	v_mov_b32_e32 v9, v7
	v_mov_b32_e32 v8, v6
	s_waitcnt lgkmcnt(0)
	v_lshrrev_b32_e32 v10, 1, v2
	v_mov_b32_e32 v2, v4
	v_mov_b32_e32 v3, v5
.LBB13_14:                              ;   in Loop: Header=BB13_4 Depth=1
	s_cbranch_execnz .LBB13_16
.LBB13_15:                              ;   in Loop: Header=BB13_4 Depth=1
	s_trap 2
	ds_read_b64 v[2:3], v0
	v_mov_b32_e32 v8, 0
	v_mov_b32_e32 v9, 0
	s_waitcnt lgkmcnt(0)
	v_lshlrev_b64 v[10:11], 9, v[2:3]
	v_mov_b32_e32 v3, v1
	v_mov_b32_e32 v2, v0
.LBB13_16:                              ;   in Loop: Header=BB13_4 Depth=1
	s_waitcnt vmcnt(0)
	s_barrier
	s_and_saveexec_b64 s[16:17], s[4:5]
	s_cbranch_execz .LBB13_19
; %bb.17:                               ;   in Loop: Header=BB13_4 Depth=1
	v_mul_lo_u32 v0, v13, s35
	s_mov_b64 s[18:19], 0
	v_mov_b32_e32 v11, v33
                                        ; implicit-def: $vgpr1
.LBB13_18:                              ;   Parent Loop BB13_4 Depth=1
                                        ; =>  This Inner Loop Header: Depth=2
	v_add_u32_e32 v11, v11, v12
	v_cmp_lt_u32_e32 vcc, 31, v11
	ds_write_b32 v1, v18
	s_or_b64 s[18:19], vcc, s[18:19]
	v_add_u32_e32 v1, v1, v0
	s_andn2_b64 exec, exec, s[18:19]
	s_cbranch_execnz .LBB13_18
.LBB13_19:                              ;   in Loop: Header=BB13_4 Depth=1
	s_or_b64 exec, exec, s[16:17]
	s_and_saveexec_b64 s[16:17], s[6:7]
	s_cbranch_execz .LBB13_21
; %bb.20:                               ;   in Loop: Header=BB13_4 Depth=1
	v_mov_b32_e32 v19, v18
	ds_write_b64 v0, v[18:19]
	s_trap 2
.LBB13_21:                              ;   in Loop: Header=BB13_4 Depth=1
	s_or_b64 exec, exec, s[16:17]
	s_and_saveexec_b64 s[16:17], s[8:9]
	s_cbranch_execz .LBB13_23
; %bb.22:                               ;   in Loop: Header=BB13_4 Depth=1
	ds_write_b32 v0, v18
	s_trap 2
.LBB13_23:                              ;   in Loop: Header=BB13_4 Depth=1
	s_or_b64 exec, exec, s[16:17]
	s_waitcnt lgkmcnt(0)
	s_barrier
	s_and_saveexec_b64 s[16:17], s[10:11]
	s_xor_b64 s[44:45], exec, s[16:17]
	s_cbranch_execz .LBB13_259
; %bb.24:                               ;   in Loop: Header=BB13_4 Depth=1
	s_and_saveexec_b64 s[46:47], s[12:13]
	s_cbranch_execz .LBB13_258
; %bb.25:                               ;   in Loop: Header=BB13_4 Depth=1
	s_trap 2
	ds_read_b128 v[0:3], v0
	s_mov_b64 s[16:17], 0
.LBB13_26:                              ;   Parent Loop BB13_4 Depth=1
                                        ; =>  This Inner Loop Header: Depth=2
	s_mov_b64 s[18:19], src_shared_base
	s_cmp_lg_u32 s36, -1
	s_cselect_b32 s18, s36, 0
	s_cselect_b32 s19, s19, 0
	v_mov_b32_e32 v4, s18
	v_mov_b32_e32 v5, s19
	flat_load_dword v4, v[4:5] glc
	s_waitcnt vmcnt(0)
	s_trap 2
	s_waitcnt lgkmcnt(0)
	v_cmp_ne_u32_e32 vcc, 0, v4
	s_or_b64 s[16:17], vcc, s[16:17]
	s_andn2_b64 exec, exec, s[16:17]
	s_cbranch_execnz .LBB13_26
; %bb.27:                               ;   in Loop: Header=BB13_4 Depth=1
	s_or_b64 exec, exec, s[16:17]
	v_lshlrev_b32_e32 v4, 6, v4
	v_sub_u32_e32 v5, 0, v4
	v_max_i32_e32 v5, v4, v5
	v_cvt_f32_u32_e32 v6, v5
	v_sub_u32_e32 v7, 0, v5
	v_ashrrev_i32_e32 v4, 31, v4
	v_mov_b32_e32 v51, 0x800
	v_rcp_iflag_f32_e32 v6, v6
	v_mul_f32_e32 v6, 0x4f7ffffe, v6
	v_cvt_u32_f32_e32 v6, v6
	v_mul_lo_u32 v7, v7, v6
	v_mul_hi_u32 v7, v6, v7
	v_add_u32_e32 v6, v6, v7
	v_lshrrev_b32_e32 v6, 25, v6
	v_mul_lo_u32 v7, v6, v5
	v_add_u32_e32 v8, 1, v6
	v_sub_u32_e32 v7, 0x80, v7
	v_cmp_ge_u32_e32 vcc, v7, v5
	v_cndmask_b32_e32 v6, v6, v8, vcc
	v_sub_u32_e32 v8, v7, v5
	v_cndmask_b32_e32 v7, v7, v8, vcc
	v_cmp_ge_u32_e32 vcc, v7, v5
	buffer_load_dword v7, off, s[0:3], s32 offset:416 ; 4-byte Folded Reload
	v_add_u32_e32 v8, 1, v6
	v_cndmask_b32_e32 v5, v6, v8, vcc
	v_xor_b32_e32 v5, v5, v4
	v_sub_u32_e32 v20, v5, v4
	v_lshlrev_b32_e32 v52, 6, v20
	v_cvt_f32_i32_e32 v9, v52
	v_bfe_i32 v4, v20, 24, 2
	v_or_b32_e32 v4, 1, v4
	s_trap 2
	v_rcp_iflag_f32_e32 v10, v9
	s_waitcnt vmcnt(0)
	v_mul_f32_e32 v5, v7, v10
	v_trunc_f32_e32 v5, v5
	v_cvt_i32_f32_e32 v6, v5
	v_mad_f32 v5, -v5, v9, v7
	v_cmp_ge_f32_e64 vcc, |v5|, |v9|
	v_cndmask_b32_e32 v4, 0, v4, vcc
	v_add_u32_e32 v4, v6, v4
	v_bfe_i32 v53, v4, 0, 16
	v_mul_lo_u32 v8, v52, v53
	ds_read_b64 v[4:5], v0
	v_sub_u32_e32 v21, v33, v8
	v_cmp_gt_i32_e32 vcc, 5, v21
	v_ashrrev_i32_e32 v22, 31, v21
	s_and_saveexec_b64 s[16:17], vcc
	s_cbranch_execz .LBB13_29
; %bb.28:                               ;   in Loop: Header=BB13_4 Depth=1
	v_lshlrev_b64 v[6:7], 2, v[21:22]
	s_getpc_b64 s[18:19]
	s_add_u32 s18, s18, __const.Primitives.roles.7@rel32@lo+4
	s_addc_u32 s19, s19, __const.Primitives.roles.7@rel32@hi+12
	v_mov_b32_e32 v11, s19
	v_add_co_u32_e32 v6, vcc, s18, v6
	v_addc_co_u32_e32 v7, vcc, v11, v7, vcc
	global_load_dword v6, v[6:7], off
	s_waitcnt vmcnt(0)
	v_or_b32_e32 v51, 0x800, v6
.LBB13_29:                              ;   in Loop: Header=BB13_4 Depth=1
	s_or_b64 exec, exec, s[16:17]
	ds_read_b32 v6, v0
	v_lshlrev_b64 v[11:12], v21, 1
	v_cmp_gt_i32_e64 s[16:17], 32, v21
	s_trap 2
	s_waitcnt lgkmcnt(0)
	v_ashrrev_i32_e32 v7, 31, v6
	v_cmp_lt_u64_e32 vcc, v[11:12], v[6:7]
	s_and_b64 s[18:19], s[16:17], vcc
	s_and_saveexec_b64 s[16:17], s[18:19]
	s_cbranch_execz .LBB13_31
; %bb.30:                               ;   in Loop: Header=BB13_4 Depth=1
	v_cvt_f32_u32_e32 v7, v6
	v_sub_u32_e32 v11, 0, v6
	ds_read_b32 v17, v0
	v_lshlrev_b32_e64 v19, v21, 1
	v_rcp_iflag_f32_e32 v7, v7
	s_trap 2
	ds_read_b64 v[15:16], v0
	s_waitcnt lgkmcnt(1)
	v_add_u32_e32 v12, v17, v19
	v_mul_f32_e32 v7, 0x4f7ffffe, v7
	v_cvt_u32_f32_e32 v7, v7
	v_sub_u32_e32 v19, v6, v19
	v_add_u32_e32 v17, v19, v17
	v_mov_b32_e32 v19, v18
	v_mul_lo_u32 v11, v11, v7
	v_mul_hi_u32 v11, v7, v11
	v_add_u32_e32 v7, v7, v11
	v_mul_hi_u32 v11, v12, v7
	v_mul_hi_u32 v7, v17, v7
	v_mul_lo_u32 v11, v11, v6
	v_mul_lo_u32 v7, v7, v6
	v_sub_u32_e32 v11, v12, v11
	v_sub_u32_e32 v12, v11, v6
	v_cmp_ge_u32_e32 vcc, v11, v6
	v_cndmask_b32_e32 v11, v11, v12, vcc
	v_sub_u32_e32 v12, v11, v6
	v_cmp_ge_u32_e32 vcc, v11, v6
	v_cndmask_b32_e32 v11, v11, v12, vcc
	v_ashrrev_i32_e32 v12, 31, v11
	v_lshlrev_b64 v[11:12], 3, v[11:12]
	v_sub_u32_e32 v7, v17, v7
	s_waitcnt lgkmcnt(0)
	v_add_co_u32_e32 v11, vcc, v15, v11
	v_addc_co_u32_e32 v12, vcc, v16, v12, vcc
	flat_load_dwordx2 v[23:24], v[11:12]
	v_sub_u32_e32 v17, v7, v6
	s_waitcnt vmcnt(0) lgkmcnt(0)
	flat_load_dwordx2 v[11:12], v[23:24] offset:608
	v_add_co_u32_e32 v13, vcc, s67, v23
	v_addc_co_u32_e32 v14, vcc, 0, v24, vcc
	v_cmp_ge_u32_e32 vcc, v7, v6
	v_cndmask_b32_e32 v7, v7, v17, vcc
	v_sub_u32_e32 v17, v7, v6
	v_cmp_ge_u32_e32 vcc, v7, v6
	v_cndmask_b32_e32 v6, v7, v17, vcc
	v_ashrrev_i32_e32 v7, 31, v6
	v_lshlrev_b64 v[6:7], 3, v[6:7]
	v_add_co_u32_e32 v6, vcc, v15, v6
	v_addc_co_u32_e32 v7, vcc, v16, v7, vcc
	s_waitcnt vmcnt(0) lgkmcnt(0)
	ds_write2_b64 v0, v[11:12], v[13:14] offset1:1
	flat_load_dwordx2 v[25:26], v[23:24] offset:520
	flat_load_dwordx4 v[11:14], v[23:24] offset:552
	s_waitcnt vmcnt(0) lgkmcnt(0)
	ds_write_b64 v0, v[25:26]
	ds_write_b64 v0, v[11:12]
	flat_load_dwordx2 v[11:12], v[11:12] glc
	v_mov_b32_e32 v25, v18
	v_mov_b32_e32 v26, v18
	s_waitcnt vmcnt(0) lgkmcnt(0)
	ds_write2_b64 v0, v[11:12], v[25:26] offset1:1
	flat_load_dwordx2 v[6:7], v[6:7]
	s_waitcnt vmcnt(0) lgkmcnt(0)
	flat_load_dwordx2 v[11:12], v[6:7] offset:104
	flat_load_dword v17, v[23:24] offset:576
	s_waitcnt vmcnt(0) lgkmcnt(0)
	ds_write2_b64 v0, v[11:12], v[6:7] offset1:1
	flat_load_dwordx2 v[11:12], v[6:7] offset:96
	flat_load_dwordx2 v[15:16], v[6:7] offset:16
	ds_write_b64 v0, v[13:14]
	s_waitcnt vmcnt(0) lgkmcnt(0)
	ds_write2_b64 v0, v[11:12], v[15:16] offset1:1
	flat_load_dwordx4 v[11:14], v[6:7] offset:48
	ds_write_b32 v0, v17
	s_waitcnt vmcnt(0) lgkmcnt(0)
	ds_write_b64 v0, v[13:14]
	flat_load_dwordx2 v[13:14], v[13:14] glc
	s_waitcnt vmcnt(0) lgkmcnt(0)
	ds_write2_b64 v0, v[11:12], v[13:14] offset1:1
	flat_load_dword v6, v[6:7] offset:72
	ds_write_b64 v0, v[18:19]
	s_waitcnt vmcnt(0) lgkmcnt(0)
	ds_write_b32 v0, v6
.LBB13_31:                              ;   in Loop: Header=BB13_4 Depth=1
	s_or_b64 exec, exec, s[16:17]
	v_cmp_eq_u32_e32 vcc, 0, v21
	s_trap 2
	s_and_saveexec_b64 s[16:17], vcc
	s_cbranch_execz .LBB13_33
; %bb.32:                               ;   in Loop: Header=BB13_4 Depth=1
	ds_write2_b64 v0, v[2:3], v[0:1] offset0:87 offset1:88
	ds_write_b64 v0, v[4:5]
	s_trap 2
.LBB13_33:                              ;   in Loop: Header=BB13_4 Depth=1
	s_or_b64 exec, exec, s[16:17]
	buffer_load_dword v0, off, s[0:3], s32 offset:412 ; 4-byte Folded Reload
                                        ; implicit-def: $sgpr56_sgpr57
                                        ; implicit-def: $vgpr23_vgpr24
	s_waitcnt vmcnt(0)
	v_cmp_ne_u32_e64 s[16:17], v52, v0
	s_and_saveexec_b64 s[18:19], s[16:17]
	s_xor_b64 s[18:19], exec, s[18:19]
	s_cbranch_execz .LBB13_49
; %bb.34:                               ;   in Loop: Header=BB13_4 Depth=1
	v_mov_b32_e32 v23, 0
	v_mov_b32_e32 v24, 0
	s_mov_b64 s[56:57], 0
	s_and_saveexec_b64 s[20:21], s[14:15]
	s_cbranch_execz .LBB13_48
; %bb.35:                               ;   in Loop: Header=BB13_4 Depth=1
	s_mov_b64 s[24:25], exec
	v_mbcnt_lo_u32_b32 v0, s24, 0
	v_mbcnt_hi_u32_b32 v0, s25, v0
	v_cmp_eq_u32_e32 vcc, 0, v0
	s_waitcnt lgkmcnt(0)
	buffer_wbinvl1_vol
	s_and_saveexec_b64 s[22:23], vcc
	s_cbranch_execz .LBB13_37
; %bb.36:                               ;   in Loop: Header=BB13_4 Depth=1
	s_bcnt1_i32_b64 s24, s[24:25]
	v_mov_b32_e32 v0, s24
	v_mov_b32_e32 v1, v18
	ds_add_u64 v0, v[0:1]
	s_trap 2
.LBB13_37:                              ;   in Loop: Header=BB13_4 Depth=1
	s_or_b64 exec, exec, s[22:23]
	s_trap 2
	ds_read_b64 v[0:1], v0
	s_waitcnt lgkmcnt(0)
	v_cmp_lt_u64_e32 vcc, 1, v[0:1]
	s_cbranch_vccnz .LBB13_47
; %bb.38:                               ;   in Loop: Header=BB13_4 Depth=1
	s_mov_b32 s60, 0
	s_mov_b64 s[22:23], 0
                                        ; implicit-def: $sgpr24_sgpr25
                                        ; implicit-def: $sgpr26_sgpr27
	s_branch .LBB13_40
.LBB13_39:                              ;   in Loop: Header=BB13_40 Depth=2
	s_or_b64 exec, exec, s[56:57]
	s_and_b64 s[28:29], exec, s[58:59]
	s_or_b64 s[22:23], s[28:29], s[22:23]
	s_andn2_b64 s[24:25], s[24:25], exec
	s_and_b64 s[28:29], s[26:27], exec
	s_or_b64 s[24:25], s[24:25], s[28:29]
	s_andn2_b64 exec, exec, s[22:23]
	s_cbranch_execz .LBB13_44
.LBB13_40:                              ;   Parent Loop BB13_4 Depth=1
                                        ; =>  This Inner Loop Header: Depth=2
	s_add_i32 s60, s60, 1
	s_cmpk_lg_i32 s60, 0x2710
	s_cselect_b64 s[28:29], -1, 0
	s_and_b64 vcc, exec, s[28:29]
	s_cbranch_vccz .LBB13_42
; %bb.41:                               ;   in Loop: Header=BB13_40 Depth=2
	s_mov_b64 s[58:59], -1
	s_or_b64 s[26:27], s[26:27], exec
	s_and_saveexec_b64 s[56:57], s[28:29]
	s_cbranch_execz .LBB13_39
	s_branch .LBB13_43
.LBB13_42:                              ;   in Loop: Header=BB13_40 Depth=2
	s_trap 2
	ds_read_b64 v[0:1], v0
	s_andn2_b64 s[28:29], s[28:29], exec
	s_mov_b32 s60, 0
	s_waitcnt lgkmcnt(0)
	flat_load_dword v0, v[0:1] glc
	s_waitcnt vmcnt(0) lgkmcnt(0)
	buffer_wbinvl1_vol
	v_cmp_eq_u32_e32 vcc, 0, v0
	s_and_b64 s[56:57], vcc, exec
	s_or_b64 s[28:29], s[28:29], s[56:57]
	s_mov_b64 s[58:59], -1
	s_or_b64 s[26:27], s[26:27], exec
	s_and_saveexec_b64 s[56:57], s[28:29]
	s_cbranch_execz .LBB13_39
.LBB13_43:                              ;   in Loop: Header=BB13_40 Depth=2
	s_sleep 1
	s_trap 2
	ds_read_b64 v[0:1], v0
	s_waitcnt lgkmcnt(0)
	s_andn2_b64 s[26:27], s[26:27], exec
	v_cmp_lt_u64_e32 vcc, 1, v[0:1]
	s_orn2_b64 s[58:59], vcc, exec
	s_branch .LBB13_39
.LBB13_44:                              ;   in Loop: Header=BB13_4 Depth=1
	s_or_b64 exec, exec, s[22:23]
	s_and_saveexec_b64 s[22:23], s[24:25]
	s_xor_b64 s[22:23], exec, s[22:23]
	s_cbranch_execz .LBB13_46
; %bb.45:                               ;   in Loop: Header=BB13_4 Depth=1
	ds_write_b32 v0, v48
	s_trap 2
.LBB13_46:                              ;   in Loop: Header=BB13_4 Depth=1
	s_or_b64 exec, exec, s[22:23]
.LBB13_47:                              ;   in Loop: Header=BB13_4 Depth=1
	v_mov_b32_e32 v23, 2
	s_mov_b64 s[56:57], exec
	v_mov_b32_e32 v24, 0
	;;#ASMSTART
	s_wakeup
	;;#ASMEND
.LBB13_48:                              ;   in Loop: Header=BB13_4 Depth=1
	s_or_b64 exec, exec, s[20:21]
.LBB13_49:                              ;   in Loop: Header=BB13_4 Depth=1
	s_andn2_saveexec_b64 s[18:19], s[18:19]
	s_cbranch_execz .LBB13_51
; %bb.50:                               ;   in Loop: Header=BB13_4 Depth=1
	v_mov_b32_e32 v23, 0
	s_andn2_b64 s[20:21], s[56:57], exec
	s_and_b64 s[22:23], s[14:15], exec
	v_mov_b32_e32 v24, 0
	s_or_b64 s[56:57], s[20:21], s[22:23]
	s_waitcnt lgkmcnt(0)
	buffer_wbinvl1_vol
	s_barrier
.LBB13_51:                              ;   in Loop: Header=BB13_4 Depth=1
	s_or_b64 exec, exec, s[18:19]
	v_mul_f32_e32 v2, 0x43000000, v10
	v_trunc_f32_e32 v2, v2
	v_and_b32_e32 v0, 0x7fffffff, v9
	v_cvt_i32_f32_e32 v3, v2
	v_mad_f32 v2, -v2, v9, s37
	v_cmp_ge_f32_e64 vcc, |v2|, v0
	buffer_load_dword v2, off, s[0:3], s32 offset:408 ; 4-byte Folded Reload
	v_ashrrev_i32_e32 v1, 30, v52
	v_or_b32_e32 v1, 1, v1
	v_cndmask_b32_e32 v0, 0, v1, vcc
	v_add_u32_e32 v19, v3, v0
	v_add_u32_e32 v54, 0x318, v0
	;; [unrolled: 1-line block ×3, first 2 shown]
	v_lshrrev_b32_e32 v0, 26, v22
	v_add_u32_e32 v0, v21, v0
	v_ashrrev_i32_e32 v22, 6, v0
	v_and_b32_e32 v0, 0xffffffc0, v0
	v_sub_u32_e32 v40, v21, v0
	v_lshlrev_b32_e32 v0, 12, v22
	v_lshl_add_u32 v0, v40, 4, v0
	v_ashrrev_i32_e32 v1, 31, v0
	v_lshlrev_b32_e32 v42, 10, v20
	v_add_co_u32_e32 v27, vcc, 0xc00, v0
	v_cmp_gt_i32_e64 s[18:19], 1, v40
	v_lshlrev_b32_e32 v41, 12, v20
	v_ashrrev_i32_e32 v43, 31, v42
	v_addc_co_u32_e32 v28, vcc, 0, v1, vcc
	s_mov_b64 s[58:59], 0
                                        ; implicit-def: $vgpr25_vgpr26
	s_waitcnt vmcnt(0)
	v_cmp_eq_u32_e64 s[20:21], v2, v8
	s_branch .LBB13_53
.LBB13_52:                              ;   in Loop: Header=BB13_53 Depth=2
	s_or_b64 exec, exec, s[22:23]
	s_waitcnt lgkmcnt(0)
	v_cmp_ne_u32_e32 vcc, 0, v44
	s_or_b64 s[58:59], vcc, s[58:59]
	v_add_u32_sdwa v53, v53, sext(v19) dst_sel:DWORD dst_unused:UNUSED_PAD src0_sel:DWORD src1_sel:WORD_0
	s_andn2_b64 exec, exec, s[58:59]
	s_cbranch_execz .LBB13_229
.LBB13_53:                              ;   Parent Loop BB13_4 Depth=1
                                        ; =>  This Loop Header: Depth=2
                                        ;       Child Loop BB13_54 Depth 3
                                        ;       Child Loop BB13_86 Depth 3
	;; [unrolled: 1-line block ×12, first 2 shown]
	s_mov_b64 s[22:23], 0
	s_trap 2
.LBB13_54:                              ;   Parent Loop BB13_4 Depth=1
                                        ;     Parent Loop BB13_53 Depth=2
                                        ; =>    This Inner Loop Header: Depth=3
	ds_read_b32 v0, v0 offset:36
	s_waitcnt lgkmcnt(0)
	v_cmp_ne_u32_e32 vcc, 0, v0
	s_or_b64 s[22:23], vcc, s[22:23]
	s_andn2_b64 exec, exec, s[22:23]
	s_cbranch_execnz .LBB13_54
; %bb.55:                               ;   in Loop: Header=BB13_53 Depth=2
	s_or_b64 exec, exec, s[22:23]
	ds_read_b32 v44, v0 offset:32
	v_and_b32_e32 v0, 2, v0
	v_cmp_ne_u32_e32 vcc, 0, v0
	s_and_saveexec_b64 s[22:23], vcc
	s_xor_b64 s[22:23], exec, s[22:23]
	s_cbranch_execnz .LBB13_58
; %bb.56:                               ;   in Loop: Header=BB13_53 Depth=2
	s_andn2_saveexec_b64 s[60:61], s[22:23]
	s_cbranch_execnz .LBB13_64
.LBB13_57:                              ;   in Loop: Header=BB13_53 Depth=2
	s_or_b64 exec, exec, s[60:61]
	s_and_saveexec_b64 s[22:23], s[20:21]
	s_cbranch_execz .LBB13_52
	s_branch .LBB13_203
.LBB13_58:                              ;   in Loop: Header=BB13_53 Depth=2
	s_and_saveexec_b64 s[24:25], s[16:17]
	s_xor_b64 s[24:25], exec, s[24:25]
	s_cbranch_execnz .LBB13_80
; %bb.59:                               ;   in Loop: Header=BB13_53 Depth=2
	s_andn2_saveexec_b64 s[24:25], s[24:25]
	s_cbranch_execnz .LBB13_153
.LBB13_60:                              ;   in Loop: Header=BB13_53 Depth=2
	s_or_b64 exec, exec, s[24:25]
	s_and_saveexec_b64 s[24:25], s[16:17]
	s_xor_b64 s[24:25], exec, s[24:25]
	s_cbranch_execnz .LBB13_154
.LBB13_61:                              ;   in Loop: Header=BB13_53 Depth=2
	s_andn2_saveexec_b64 s[24:25], s[24:25]
	s_cbranch_execz .LBB13_63
.LBB13_62:                              ;   in Loop: Header=BB13_53 Depth=2
	s_waitcnt vmcnt(0) lgkmcnt(0)
	buffer_wbinvl1_vol
	s_barrier
.LBB13_63:                              ;   in Loop: Header=BB13_53 Depth=2
	s_or_b64 exec, exec, s[24:25]
	s_andn2_saveexec_b64 s[60:61], s[22:23]
	s_cbranch_execz .LBB13_57
.LBB13_64:                              ;   in Loop: Header=BB13_53 Depth=2
	ds_read_b64 v[4:5], v0
	ds_read2_b64 v[0:3], v0 offset0:87 offset1:88
	v_mov_b32_e32 v45, -1
	s_waitcnt lgkmcnt(0)
	ds_read_b32 v6, v0 offset:28
	ds_read2_b32 v[29:30], v0 offset0:5 offset1:6
	v_cmp_lt_i32_e32 vcc, -1, v4
	v_and_b32_e32 v4, 36, v51
	v_cmp_ne_u32_e64 s[22:23], 0, v4
	s_and_b64 s[62:63], vcc, s[22:23]
	s_and_saveexec_b64 s[22:23], s[62:63]
	s_cbranch_execz .LBB13_66
; %bb.65:                               ;   in Loop: Header=BB13_53 Depth=2
	s_trap 2
	ds_read_b64 v[25:26], v0
                                        ; implicit-def: $vgpr45
.LBB13_66:                              ;   in Loop: Header=BB13_53 Depth=2
	s_or_b64 exec, exec, s[22:23]
	v_and_b32_e32 v4, 24, v51
	v_cmp_lt_i32_e32 vcc, -1, v5
	v_cmp_ne_u32_e64 s[22:23], 0, v4
	s_and_b64 s[72:73], vcc, s[22:23]
	s_and_saveexec_b64 s[22:23], s[72:73]
	s_cbranch_execz .LBB13_68
; %bb.67:                               ;   in Loop: Header=BB13_53 Depth=2
	s_trap 2
	s_waitcnt lgkmcnt(0)
	ds_read_b64 v[25:26], v0
                                        ; implicit-def: $vgpr45
.LBB13_68:                              ;   in Loop: Header=BB13_53 Depth=2
	s_or_b64 exec, exec, s[22:23]
	v_and_b32_e32 v4, 4, v51
	v_cmp_ne_u32_e32 vcc, 0, v4
	s_waitcnt lgkmcnt(0)
	v_max_i32_e32 v46, 0, v6
	s_and_b64 s[22:23], s[62:63], vcc
	s_and_saveexec_b64 s[24:25], s[22:23]
	s_cbranch_execz .LBB13_98
; %bb.69:                               ;   in Loop: Header=BB13_53 Depth=2
	ds_read2_b32 v[4:5], v0 offset0:2 offset1:4
	ds_read2_b64 v[6:9], v45 offset0:3 offset1:6
	ds_read_b32 v10, v45 offset:64
	s_waitcnt lgkmcnt(0)
	v_add_u32_e32 v11, v25, v5
	v_and_b32_e32 v11, 7, v11
	s_waitcnt lgkmcnt(0)
	v_mad_i64_i32 v[10:11], s[22:23], v11, v10, v[6:7]
	v_ashrrev_i32_e32 v7, 31, v4
	v_mov_b32_e32 v6, v5
	v_add_co_u32_e32 v10, vcc, v10, v4
	v_addc_co_u32_e32 v11, vcc, v11, v7, vcc
	v_add_co_u32_e32 v12, vcc, 1, v25
	v_addc_co_u32_e32 v13, vcc, 0, v26, vcc
	v_ashrrev_i32_e32 v7, 31, v5
	v_add_co_u32_e32 v4, vcc, v12, v5
	v_addc_co_u32_e32 v5, vcc, v13, v7, vcc
	v_cmp_lt_u64_e32 vcc, v[8:9], v[4:5]
	v_mov_b32_e32 v4, v6
	v_mov_b32_e32 v5, v7
	ds_write_b64 v0, v[10:11] offset:720
	s_and_saveexec_b64 s[26:27], vcc
	s_cbranch_execz .LBB13_93
; %bb.70:                               ;   in Loop: Header=BB13_53 Depth=2
	v_and_b32_e32 v7, 64, v51
	s_mov_b32 s71, 0
	v_cmp_eq_u32_e32 vcc, 0, v7
	s_mov_b64 s[28:29], 0
                                        ; implicit-def: $sgpr74_sgpr75
                                        ; implicit-def: $sgpr76_sgpr77
                                        ; implicit-def: $sgpr78_sgpr79
	s_branch .LBB13_73
.LBB13_71:                              ;   in Loop: Header=BB13_73 Depth=3
	s_or_b64 exec, exec, s[30:31]
	s_andn2_b64 s[22:23], s[78:79], exec
	s_and_b64 s[78:79], s[92:93], exec
	s_or_b64 s[78:79], s[22:23], s[78:79]
	s_andn2_b64 s[22:23], s[76:77], exec
	s_and_b64 s[76:77], s[90:91], exec
	s_or_b64 s[76:77], s[22:23], s[76:77]
.LBB13_72:                              ;   in Loop: Header=BB13_73 Depth=3
	s_or_b64 exec, exec, s[88:89]
	s_and_b64 s[22:23], exec, s[76:77]
	s_or_b64 s[28:29], s[22:23], s[28:29]
	s_andn2_b64 s[22:23], s[74:75], exec
	s_and_b64 s[74:75], s[78:79], exec
	s_or_b64 s[74:75], s[22:23], s[74:75]
	s_andn2_b64 exec, exec, s[28:29]
	s_cbranch_execz .LBB13_90
.LBB13_73:                              ;   Parent Loop BB13_4 Depth=1
                                        ;     Parent Loop BB13_53 Depth=2
                                        ; =>    This Inner Loop Header: Depth=3
	s_waitcnt lgkmcnt(0)
	ds_read_b64 v[7:8], v45 offset:40
	v_mov_b32_e32 v11, v5
	s_or_b64 s[78:79], s[78:79], exec
	s_or_b64 s[76:77], s[76:77], exec
	v_mov_b32_e32 v10, v4
	s_waitcnt lgkmcnt(0)
	flat_load_dwordx2 v[8:9], v[7:8] glc
                                        ; implicit-def: $vgpr14
	s_waitcnt vmcnt(0) lgkmcnt(0)
	ds_write_b64 v45, v[8:9] offset:48
	s_and_saveexec_b64 s[88:89], vcc
	s_cbranch_execz .LBB13_72
; %bb.74:                               ;   in Loop: Header=BB13_73 Depth=3
	s_cmpk_gt_i32 s71, 0x270e
	s_mov_b64 s[90:91], -1
	s_cbranch_scc0 .LBB13_78
; %bb.75:                               ;   in Loop: Header=BB13_73 Depth=3
	s_trap 2
	ds_read_b64 v[6:7], v0
	s_mov_b64 s[92:93], 0
	s_mov_b64 s[94:95], 0
                                        ; implicit-def: $vgpr8_vgpr9
	s_waitcnt lgkmcnt(0)
	flat_load_dword v14, v[6:7] glc
	s_waitcnt vmcnt(0) lgkmcnt(0)
	buffer_wbinvl1_vol
                                        ; implicit-def: $vgpr6
	v_cmp_eq_u32_e64 s[22:23], 0, v14
	s_and_saveexec_b64 s[30:31], s[22:23]
	s_cbranch_execz .LBB13_77
; %bb.76:                               ;   in Loop: Header=BB13_73 Depth=3
	ds_read_b64 v[8:9], v45 offset:48
	ds_read_b32 v6, v0 offset:16
	s_mov_b64 s[94:95], exec
.LBB13_77:                              ;   in Loop: Header=BB13_73 Depth=3
	s_or_b64 exec, exec, s[30:31]
	s_mov_b32 s71, 0
                                        ; implicit-def: $vgpr10_vgpr11
	s_and_saveexec_b64 s[30:31], s[94:95]
	s_cbranch_execz .LBB13_71
	s_branch .LBB13_79
.LBB13_78:                              ;   in Loop: Header=BB13_73 Depth=3
	s_add_i32 s71, s71, 1
	s_mov_b64 s[94:95], -1
	s_mov_b64 s[92:93], -1
                                        ; implicit-def: $vgpr14
                                        ; implicit-def: $vgpr10_vgpr11
	s_and_saveexec_b64 s[30:31], s[94:95]
	s_cbranch_execz .LBB13_71
.LBB13_79:                              ;   in Loop: Header=BB13_73 Depth=3
	s_waitcnt lgkmcnt(0)
	v_ashrrev_i32_e32 v7, 31, v6
	v_add_co_u32_e64 v10, s[22:23], v12, v6
	v_addc_co_u32_e64 v11, s[22:23], v13, v7, s[22:23]
	v_cmp_ge_u64_e64 s[22:23], v[8:9], v[10:11]
	v_mov_b32_e32 v11, v7
	s_or_b64 s[92:93], s[92:93], exec
	s_orn2_b64 s[90:91], s[22:23], exec
	v_mov_b32_e32 v10, v6
	s_branch .LBB13_71
.LBB13_80:                              ;   in Loop: Header=BB13_53 Depth=2
	s_and_saveexec_b64 s[26:27], s[56:57]
	s_cbranch_execz .LBB13_152
; %bb.81:                               ;   in Loop: Header=BB13_53 Depth=2
	s_mov_b64 s[60:61], exec
	v_mbcnt_lo_u32_b32 v0, s60, 0
	v_mbcnt_hi_u32_b32 v0, s61, v0
	v_cmp_eq_u32_e32 vcc, 0, v0
	s_waitcnt vmcnt(0) lgkmcnt(0)
	buffer_wbinvl1_vol
	s_and_saveexec_b64 s[28:29], vcc
	s_cbranch_execz .LBB13_83
; %bb.82:                               ;   in Loop: Header=BB13_53 Depth=2
	s_bcnt1_i32_b64 s60, s[60:61]
	v_mov_b32_e32 v0, s60
	v_mov_b32_e32 v1, v18
	ds_add_u64 v0, v[0:1]
	s_trap 2
.LBB13_83:                              ;   in Loop: Header=BB13_53 Depth=2
	s_or_b64 exec, exec, s[28:29]
	s_trap 2
	ds_read_b64 v[0:1], v0
	s_waitcnt lgkmcnt(0)
	v_add_co_u32_e32 v23, vcc, 2, v23
	v_addc_co_u32_e32 v24, vcc, 0, v24, vcc
	v_cmp_lt_u64_e32 vcc, v[0:1], v[23:24]
	s_and_saveexec_b64 s[28:29], vcc
	s_cbranch_execz .LBB13_151
; %bb.84:                               ;   in Loop: Header=BB13_53 Depth=2
	s_mov_b32 s88, 0
	s_mov_b64 s[60:61], 0
                                        ; implicit-def: $sgpr62_sgpr63
                                        ; implicit-def: $sgpr72_sgpr73
	s_branch .LBB13_86
.LBB13_85:                              ;   in Loop: Header=BB13_86 Depth=3
	s_or_b64 exec, exec, s[76:77]
	s_and_b64 s[74:75], exec, s[78:79]
	s_or_b64 s[60:61], s[74:75], s[60:61]
	s_andn2_b64 s[62:63], s[62:63], exec
	s_and_b64 s[74:75], s[72:73], exec
	s_or_b64 s[62:63], s[62:63], s[74:75]
	s_andn2_b64 exec, exec, s[60:61]
	s_cbranch_execz .LBB13_149
.LBB13_86:                              ;   Parent Loop BB13_4 Depth=1
                                        ;     Parent Loop BB13_53 Depth=2
                                        ; =>    This Inner Loop Header: Depth=3
	s_add_i32 s88, s88, 1
	s_cmpk_lg_i32 s88, 0x2710
	s_cselect_b64 s[74:75], -1, 0
	s_and_b64 vcc, exec, s[74:75]
	s_cbranch_vccz .LBB13_88
; %bb.87:                               ;   in Loop: Header=BB13_86 Depth=3
	s_mov_b64 s[78:79], -1
	s_or_b64 s[72:73], s[72:73], exec
	s_and_saveexec_b64 s[76:77], s[74:75]
	s_cbranch_execz .LBB13_85
	s_branch .LBB13_89
.LBB13_88:                              ;   in Loop: Header=BB13_86 Depth=3
	s_trap 2
	ds_read_b64 v[0:1], v0
	s_andn2_b64 s[74:75], s[74:75], exec
	s_mov_b32 s88, 0
	s_waitcnt lgkmcnt(0)
	flat_load_dword v0, v[0:1] glc
	s_waitcnt vmcnt(0) lgkmcnt(0)
	buffer_wbinvl1_vol
	v_cmp_eq_u32_e32 vcc, 0, v0
	s_and_b64 s[76:77], vcc, exec
	s_or_b64 s[74:75], s[74:75], s[76:77]
	s_mov_b64 s[78:79], -1
	s_or_b64 s[72:73], s[72:73], exec
	s_and_saveexec_b64 s[76:77], s[74:75]
	s_cbranch_execz .LBB13_85
.LBB13_89:                              ;   in Loop: Header=BB13_86 Depth=3
	s_sleep 1
	s_trap 2
	ds_read_b64 v[0:1], v0
	s_waitcnt lgkmcnt(0)
	s_andn2_b64 s[72:73], s[72:73], exec
	v_cmp_ge_u64_e32 vcc, v[0:1], v[23:24]
	s_orn2_b64 s[78:79], vcc, exec
	s_branch .LBB13_85
.LBB13_90:                              ;   in Loop: Header=BB13_53 Depth=2
	s_or_b64 exec, exec, s[28:29]
	s_xor_b64 s[22:23], s[74:75], -1
	s_and_saveexec_b64 s[28:29], s[22:23]
	s_xor_b64 s[22:23], exec, s[28:29]
	s_cbranch_execz .LBB13_92
; %bb.91:                               ;   in Loop: Header=BB13_53 Depth=2
	s_waitcnt lgkmcnt(0)
	ds_write_b32 v0, v14
	s_trap 2
	ds_read_b32 v10, v0 offset:16
	v_or_b32_e32 v51, 64, v51
	s_waitcnt lgkmcnt(0)
	v_ashrrev_i32_e32 v11, 31, v10
.LBB13_92:                              ;   in Loop: Header=BB13_53 Depth=2
	s_or_b64 exec, exec, s[22:23]
	v_mov_b32_e32 v4, v10
	v_mov_b32_e32 v5, v11
.LBB13_93:                              ;   in Loop: Header=BB13_53 Depth=2
	s_or_b64 exec, exec, s[26:27]
	s_waitcnt lgkmcnt(0)
	ds_read_b32 v8, v0 offset:8
	s_waitcnt lgkmcnt(1)
	ds_read_b64 v[6:7], v45 offset:56
	ds_read_b32 v10, v45 offset:64
	v_add_co_u32_e32 v4, vcc, v25, v4
	s_waitcnt lgkmcnt(0)
	v_add_u32_e32 v8, v8, v46
	v_ashrrev_i32_e32 v9, 31, v8
	v_addc_co_u32_e32 v11, vcc, v26, v5, vcc
	s_waitcnt lgkmcnt(0)
	v_ashrrev_i32_e32 v5, 31, v10
	v_mul_lo_u32 v12, v4, v5
	v_mad_u64_u32 v[4:5], s[22:23], v4, v10, v[8:9]
	v_mul_lo_u32 v8, v11, v10
	v_add3_u32 v5, v8, v5, v12
	v_cmp_ge_u64_e32 vcc, v[6:7], v[4:5]
                                        ; implicit-def: $vgpr4_vgpr5
	s_and_saveexec_b64 s[22:23], vcc
	s_xor_b64 s[22:23], exec, s[22:23]
; %bb.94:                               ;   in Loop: Header=BB13_53 Depth=2
	ds_read_b64 v[4:5], v0 offset:720
; %bb.95:                               ;   in Loop: Header=BB13_53 Depth=2
	s_andn2_saveexec_b64 s[22:23], s[22:23]
	s_cbranch_execz .LBB13_97
; %bb.96:                               ;   in Loop: Header=BB13_53 Depth=2
	s_waitcnt lgkmcnt(0)
	ds_read_b64 v[4:5], v0 offset:48
	s_waitcnt lgkmcnt(0)
	v_add_co_u32_e32 v4, vcc, v2, v4
	v_addc_co_u32_e32 v5, vcc, v3, v5, vcc
.LBB13_97:                              ;   in Loop: Header=BB13_53 Depth=2
	s_or_b64 exec, exec, s[22:23]
	s_waitcnt lgkmcnt(0)
	ds_write_b64 v54, v[4:5]
.LBB13_98:                              ;   in Loop: Header=BB13_53 Depth=2
	s_or_b64 exec, exec, s[24:25]
	v_and_b32_e32 v4, 8, v51
	v_cmp_ne_u32_e32 vcc, 0, v4
	s_and_b64 s[22:23], s[72:73], vcc
	s_and_saveexec_b64 s[24:25], s[22:23]
	s_cbranch_execz .LBB13_114
; %bb.99:                               ;   in Loop: Header=BB13_53 Depth=2
	ds_read_b64 v[4:5], v45 offset:48
	s_waitcnt lgkmcnt(0)
	v_add_co_u32_e32 v6, vcc, 8, v4
	v_addc_co_u32_e32 v7, vcc, 0, v5, vcc
	v_add_co_u32_e32 v4, vcc, 1, v25
	v_addc_co_u32_e32 v5, vcc, 0, v26, vcc
	v_cmp_lt_u64_e32 vcc, v[6:7], v[4:5]
	s_and_saveexec_b64 s[26:27], vcc
	s_cbranch_execz .LBB13_113
; %bb.100:                              ;   in Loop: Header=BB13_53 Depth=2
	v_and_b32_e32 v6, 64, v51
	s_mov_b32 s71, 0
	v_cmp_eq_u32_e32 vcc, 0, v6
	s_mov_b64 s[28:29], 0
                                        ; implicit-def: $sgpr74_sgpr75
                                        ; implicit-def: $sgpr76_sgpr77
                                        ; implicit-def: $sgpr78_sgpr79
	s_branch .LBB13_103
.LBB13_101:                             ;   in Loop: Header=BB13_103 Depth=3
	s_or_b64 exec, exec, s[30:31]
	s_andn2_b64 s[22:23], s[78:79], exec
	s_and_b64 s[78:79], s[92:93], exec
	s_or_b64 s[78:79], s[22:23], s[78:79]
	s_andn2_b64 s[22:23], s[76:77], exec
	s_and_b64 s[76:77], s[90:91], exec
	s_or_b64 s[76:77], s[22:23], s[76:77]
.LBB13_102:                             ;   in Loop: Header=BB13_103 Depth=3
	s_or_b64 exec, exec, s[88:89]
	s_and_b64 s[22:23], exec, s[76:77]
	s_or_b64 s[28:29], s[22:23], s[28:29]
	s_andn2_b64 s[22:23], s[74:75], exec
	s_and_b64 s[74:75], s[78:79], exec
	s_or_b64 s[74:75], s[22:23], s[74:75]
	s_andn2_b64 exec, exec, s[28:29]
	s_cbranch_execz .LBB13_110
.LBB13_103:                             ;   Parent Loop BB13_4 Depth=1
                                        ;     Parent Loop BB13_53 Depth=2
                                        ; =>    This Inner Loop Header: Depth=3
	s_waitcnt lgkmcnt(0)
	ds_read_b64 v[6:7], v45 offset:32
	s_or_b64 s[78:79], s[78:79], exec
	s_or_b64 s[76:77], s[76:77], exec
                                        ; implicit-def: $vgpr8
	s_waitcnt lgkmcnt(0)
	flat_load_dwordx2 v[6:7], v[6:7] glc
	s_waitcnt vmcnt(0) lgkmcnt(0)
	ds_write_b64 v45, v[6:7] offset:48
	s_and_saveexec_b64 s[88:89], vcc
	s_cbranch_execz .LBB13_102
; %bb.104:                              ;   in Loop: Header=BB13_103 Depth=3
	s_cmpk_gt_i32 s71, 0x270e
	s_mov_b64 s[90:91], -1
	s_cbranch_scc0 .LBB13_108
; %bb.105:                              ;   in Loop: Header=BB13_103 Depth=3
	s_trap 2
	ds_read_b64 v[6:7], v0
	s_mov_b64 s[92:93], 0
	s_mov_b64 s[94:95], 0
	s_waitcnt lgkmcnt(0)
	flat_load_dword v8, v[6:7] glc
	s_waitcnt vmcnt(0) lgkmcnt(0)
	buffer_wbinvl1_vol
                                        ; implicit-def: $vgpr6_vgpr7
	v_cmp_eq_u32_e64 s[22:23], 0, v8
	s_and_saveexec_b64 s[30:31], s[22:23]
; %bb.106:                              ;   in Loop: Header=BB13_103 Depth=3
	ds_read_b64 v[6:7], v45 offset:48
	s_mov_b64 s[94:95], exec
; %bb.107:                              ;   in Loop: Header=BB13_103 Depth=3
	s_or_b64 exec, exec, s[30:31]
	s_mov_b32 s71, 0
	s_and_saveexec_b64 s[30:31], s[94:95]
	s_cbranch_execz .LBB13_101
	s_branch .LBB13_109
.LBB13_108:                             ;   in Loop: Header=BB13_103 Depth=3
	s_add_i32 s71, s71, 1
	s_mov_b64 s[94:95], -1
	s_mov_b64 s[92:93], -1
                                        ; implicit-def: $vgpr8
	s_and_saveexec_b64 s[30:31], s[94:95]
	s_cbranch_execz .LBB13_101
.LBB13_109:                             ;   in Loop: Header=BB13_103 Depth=3
	s_waitcnt lgkmcnt(0)
	v_add_co_u32_e64 v6, s[22:23], 8, v6
	v_addc_co_u32_e64 v7, s[22:23], 0, v7, s[22:23]
	v_cmp_ge_u64_e64 s[22:23], v[6:7], v[4:5]
	s_or_b64 s[92:93], s[92:93], exec
	s_orn2_b64 s[90:91], s[22:23], exec
	s_branch .LBB13_101
.LBB13_110:                             ;   in Loop: Header=BB13_53 Depth=2
	s_or_b64 exec, exec, s[28:29]
	s_xor_b64 s[22:23], s[74:75], -1
	s_and_saveexec_b64 s[28:29], s[22:23]
	s_xor_b64 s[22:23], exec, s[28:29]
	s_cbranch_execz .LBB13_112
; %bb.111:                              ;   in Loop: Header=BB13_53 Depth=2
	v_or_b32_e32 v51, 64, v51
	s_waitcnt lgkmcnt(0)
	ds_write_b32 v0, v8
	s_trap 2
.LBB13_112:                             ;   in Loop: Header=BB13_53 Depth=2
	s_or_b64 exec, exec, s[22:23]
.LBB13_113:                             ;   in Loop: Header=BB13_53 Depth=2
	s_or_b64 exec, exec, s[26:27]
	ds_read_b64 v[4:5], v45 offset:24
	s_waitcnt lgkmcnt(0)
	ds_read_b32 v6, v45 offset:64
	ds_read_b32 v7, v0 offset:12
	v_and_b32_e32 v8, 7, v25
	s_waitcnt lgkmcnt(0)
	v_mad_i64_i32 v[4:5], s[22:23], v8, v6, v[4:5]
	s_waitcnt lgkmcnt(0)
	v_ashrrev_i32_e32 v6, 31, v7
	v_add_co_u32_e32 v4, vcc, v4, v7
	v_addc_co_u32_e32 v5, vcc, v5, v6, vcc
	ds_write_b64 v55, v[4:5]
.LBB13_114:                             ;   in Loop: Header=BB13_53 Depth=2
	s_or_b64 exec, exec, s[24:25]
	s_trap 2
	ds_read_b32 v4, v0
	ds_read_b64 v[31:32], v0
	v_and_b32_e32 v5, 1, v51
	v_cmp_eq_u32_e64 s[22:23], 1, v5
	s_waitcnt lgkmcnt(0)
	v_cmp_gt_i32_e32 vcc, 0, v4
	s_and_b64 s[26:27], vcc, s[22:23]
	s_and_saveexec_b64 s[24:25], s[26:27]
	s_cbranch_execnz .LBB13_124
; %bb.115:                              ;   in Loop: Header=BB13_53 Depth=2
	s_or_b64 exec, exec, s[24:25]
	s_and_saveexec_b64 s[24:25], s[16:17]
	s_xor_b64 s[24:25], exec, s[24:25]
	s_cbranch_execnz .LBB13_127
.LBB13_116:                             ;   in Loop: Header=BB13_53 Depth=2
	s_andn2_saveexec_b64 s[24:25], s[24:25]
	s_cbranch_execz .LBB13_118
.LBB13_117:                             ;   in Loop: Header=BB13_53 Depth=2
	s_waitcnt vmcnt(0) lgkmcnt(0)
	buffer_wbinvl1_vol
	s_barrier
.LBB13_118:                             ;   in Loop: Header=BB13_53 Depth=2
	s_or_b64 exec, exec, s[24:25]
	ds_read_b32 v5, v0 offset:4
	ds_read2_b64 v[0:3], v0 offset0:90 offset1:99
	s_trap 2
	s_mov_b64 s[28:29], -1
	s_waitcnt lgkmcnt(0)
	ds_read_b32 v4, v0
	s_and_saveexec_b64 s[24:25], s[18:19]
	s_cbranch_execz .LBB13_120
; %bb.119:                              ;   in Loop: Header=BB13_53 Depth=2
	v_lshl_add_u32 v6, v40, 3, v0
	ds_read_b32 v6, v6 offset:720
	s_waitcnt lgkmcnt(0)
	v_and_b32_e32 v6, 15, v6
	v_cmp_eq_u32_e32 vcc, 0, v6
	s_orn2_b64 s[28:29], vcc, exec
.LBB13_120:                             ;   in Loop: Header=BB13_53 Depth=2
	s_or_b64 exec, exec, s[24:25]
	v_cmp_gt_i32_e64 s[24:25], 0, v5
	v_cmp_eq_u64_e32 vcc, v[0:1], v[2:3]
	v_cndmask_b32_e64 v5, 2, 1, s[24:25]
	v_subbrev_co_u32_e32 v56, vcc, 0, v5, vcc
	v_cndmask_b32_e64 v47, v55, v54, s[24:25]
	v_cmp_lt_i32_e32 vcc, v40, v56
	s_and_saveexec_b64 s[26:27], vcc
	s_cbranch_execz .LBB13_122
; %bb.121:                              ;   in Loop: Header=BB13_53 Depth=2
	v_lshl_add_u32 v2, v40, 3, v47
	ds_read_b32 v2, v2
	s_waitcnt lgkmcnt(0)
	v_and_b32_e32 v2, 15, v2
	v_cmp_eq_u32_e32 vcc, 0, v2
	s_and_b64 s[74:75], s[28:29], vcc
	s_andn2_b64 s[28:29], s[28:29], exec
	s_and_b64 s[74:75], s[74:75], exec
	s_or_b64 s[28:29], s[28:29], s[74:75]
.LBB13_122:                             ;   in Loop: Header=BB13_53 Depth=2
	s_or_b64 exec, exec, s[26:27]
	s_xor_b64 s[28:29], s[28:29], -1
	s_waitcnt lgkmcnt(0)
	v_cmp_eq_u32_e32 vcc, 0, v4
	v_cndmask_b32_e64 v2, 0, 1, s[28:29]
	v_cndmask_b32_e32 v57, 0, v46, vcc
	s_mov_b64 s[26:27], -1
	v_cmp_ne_u32_e32 vcc, 0, v2
	v_mov_b32_e32 v6, 0
	s_cbranch_vccz .LBB13_137
; %bb.123:                              ;   in Loop: Header=BB13_53 Depth=2
	v_mov_b32_e32 v7, v21
	v_mov_b32_e32 v4, v22
	s_and_saveexec_b64 s[28:29], s[26:27]
	s_cbranch_execnz .LBB13_177
	s_branch .LBB13_189
.LBB13_124:                             ;   in Loop: Header=BB13_53 Depth=2
	ds_read_b64 v[4:5], v0 offset:40
	s_waitcnt lgkmcnt(0)
	v_add_co_u32_e32 v0, vcc, v0, v4
	v_addc_co_u32_e32 v1, vcc, v1, v5, vcc
	v_add_co_u32_e32 v4, vcc, v4, v46
	v_addc_co_u32_e32 v5, vcc, 0, v5, vcc
	v_cmp_lt_u64_e32 vcc, v[31:32], v[4:5]
	ds_write_b64 v0, v[0:1] offset:720
	s_and_saveexec_b64 s[26:27], vcc
	s_cbranch_execz .LBB13_126
; %bb.125:                              ;   in Loop: Header=BB13_53 Depth=2
	ds_read_b64 v[0:1], v0 offset:48
	v_mov_b32_e32 v32, v5
	v_mov_b32_e32 v31, v4
	s_waitcnt lgkmcnt(0)
	v_add_co_u32_e32 v0, vcc, v2, v0
	v_addc_co_u32_e32 v1, vcc, v3, v1, vcc
.LBB13_126:                             ;   in Loop: Header=BB13_53 Depth=2
	s_or_b64 exec, exec, s[26:27]
	ds_write_b64 v54, v[0:1]
	s_or_b64 exec, exec, s[24:25]
	s_and_saveexec_b64 s[24:25], s[16:17]
	s_xor_b64 s[24:25], exec, s[24:25]
	s_cbranch_execz .LBB13_116
.LBB13_127:                             ;   in Loop: Header=BB13_53 Depth=2
	s_and_saveexec_b64 s[26:27], s[56:57]
	s_cbranch_execz .LBB13_167
; %bb.128:                              ;   in Loop: Header=BB13_53 Depth=2
	s_mov_b64 s[74:75], exec
	v_mbcnt_lo_u32_b32 v0, s74, 0
	v_mbcnt_hi_u32_b32 v0, s75, v0
	v_cmp_eq_u32_e32 vcc, 0, v0
	s_waitcnt vmcnt(0) lgkmcnt(0)
	buffer_wbinvl1_vol
	s_and_saveexec_b64 s[28:29], vcc
	s_cbranch_execz .LBB13_130
; %bb.129:                              ;   in Loop: Header=BB13_53 Depth=2
	s_bcnt1_i32_b64 s74, s[74:75]
	v_mov_b32_e32 v0, s74
	v_mov_b32_e32 v1, v18
	ds_add_u64 v0, v[0:1]
	s_trap 2
.LBB13_130:                             ;   in Loop: Header=BB13_53 Depth=2
	s_or_b64 exec, exec, s[28:29]
	s_trap 2
	ds_read_b64 v[0:1], v0
	s_waitcnt lgkmcnt(0)
	v_add_co_u32_e32 v23, vcc, 2, v23
	v_addc_co_u32_e32 v24, vcc, 0, v24, vcc
	v_cmp_lt_u64_e32 vcc, v[0:1], v[23:24]
	s_and_saveexec_b64 s[28:29], vcc
	s_cbranch_execz .LBB13_166
; %bb.131:                              ;   in Loop: Header=BB13_53 Depth=2
	s_mov_b32 s94, 0
	s_mov_b64 s[74:75], 0
                                        ; implicit-def: $sgpr76_sgpr77
                                        ; implicit-def: $sgpr78_sgpr79
	s_branch .LBB13_133
.LBB13_132:                             ;   in Loop: Header=BB13_133 Depth=3
	s_or_b64 exec, exec, s[90:91]
	s_and_b64 s[88:89], exec, s[92:93]
	s_or_b64 s[74:75], s[88:89], s[74:75]
	s_andn2_b64 s[76:77], s[76:77], exec
	s_and_b64 s[88:89], s[78:79], exec
	s_or_b64 s[76:77], s[76:77], s[88:89]
	s_andn2_b64 exec, exec, s[74:75]
	s_cbranch_execz .LBB13_164
.LBB13_133:                             ;   Parent Loop BB13_4 Depth=1
                                        ;     Parent Loop BB13_53 Depth=2
                                        ; =>    This Inner Loop Header: Depth=3
	s_add_i32 s94, s94, 1
	s_cmpk_lg_i32 s94, 0x2710
	s_cselect_b64 s[88:89], -1, 0
	s_and_b64 vcc, exec, s[88:89]
	s_cbranch_vccz .LBB13_135
; %bb.134:                              ;   in Loop: Header=BB13_133 Depth=3
	s_mov_b64 s[92:93], -1
	s_or_b64 s[78:79], s[78:79], exec
	s_and_saveexec_b64 s[90:91], s[88:89]
	s_cbranch_execz .LBB13_132
	s_branch .LBB13_136
.LBB13_135:                             ;   in Loop: Header=BB13_133 Depth=3
	s_trap 2
	ds_read_b64 v[0:1], v0
	s_andn2_b64 s[88:89], s[88:89], exec
	s_mov_b32 s94, 0
	s_waitcnt lgkmcnt(0)
	flat_load_dword v0, v[0:1] glc
	s_waitcnt vmcnt(0) lgkmcnt(0)
	buffer_wbinvl1_vol
	v_cmp_eq_u32_e32 vcc, 0, v0
	s_and_b64 s[90:91], vcc, exec
	s_or_b64 s[88:89], s[88:89], s[90:91]
	s_mov_b64 s[92:93], -1
	s_or_b64 s[78:79], s[78:79], exec
	s_and_saveexec_b64 s[90:91], s[88:89]
	s_cbranch_execz .LBB13_132
.LBB13_136:                             ;   in Loop: Header=BB13_133 Depth=3
	s_sleep 1
	s_trap 2
	ds_read_b64 v[0:1], v0
	s_waitcnt lgkmcnt(0)
	s_andn2_b64 s[78:79], s[78:79], exec
	v_cmp_ge_u64_e32 vcc, v[0:1], v[23:24]
	s_orn2_b64 s[92:93], vcc, exec
	s_branch .LBB13_132
.LBB13_137:                             ;   in Loop: Header=BB13_53 Depth=2
	v_lshrrev_b32_e32 v2, 12, v57
	v_sub_u32_e32 v39, v2, v22
	v_cmp_lt_i32_e32 vcc, 0, v39
	s_and_saveexec_b64 s[28:29], vcc
	s_cbranch_execz .LBB13_143
; %bb.138:                              ;   in Loop: Header=BB13_53 Depth=2
	ds_read_b64 v[33:34], v47
	v_mov_b32_e32 v36, v28
	v_cmp_lt_u32_e32 vcc, 1, v56
	s_mov_b64 s[74:75], 0
	v_mov_b32_e32 v35, v27
	s_branch .LBB13_140
.LBB13_139:                             ;   in Loop: Header=BB13_140 Depth=3
	s_or_b64 exec, exec, s[76:77]
	v_sub_u32_e32 v39, v39, v20
	v_cmp_gt_i32_e64 s[26:27], 1, v39
	s_or_b64 s[74:75], s[26:27], s[74:75]
	v_ashrrev_i32_e32 v2, 31, v41
	v_add_co_u32_e64 v35, s[26:27], v35, v41
	v_addc_co_u32_e64 v36, s[26:27], v36, v2, s[26:27]
	s_andn2_b64 exec, exec, s[74:75]
	s_cbranch_execz .LBB13_142
.LBB13_140:                             ;   Parent Loop BB13_4 Depth=1
                                        ;     Parent Loop BB13_53 Depth=2
                                        ; =>    This Inner Loop Header: Depth=3
	v_add_co_u32_e64 v2, s[26:27], v0, v35
	v_addc_co_u32_e64 v3, s[26:27], v1, v36, s[26:27]
	global_load_dwordx4 v[14:17], v[2:3], off offset:-3072 glc slc
	global_load_dwordx4 v[10:13], v[2:3], off offset:-2048 glc slc
	;; [unrolled: 1-line block ×3, first 2 shown]
	s_nop 0
	global_load_dwordx4 v[2:5], v[2:3], off glc slc
	s_waitcnt lgkmcnt(0)
	v_add_co_u32_e64 v58, s[26:27], v33, v35
	v_addc_co_u32_e64 v59, s[26:27], v34, v36, s[26:27]
	s_waitcnt vmcnt(0)
	global_store_dwordx4 v[58:59], v[14:17], off offset:-3072 glc slc
	s_waitcnt vmcnt(3)
	global_store_dwordx4 v[58:59], v[10:13], off offset:-2048 glc slc
	;; [unrolled: 2-line block ×3, first 2 shown]
	s_waitcnt vmcnt(3)
	global_store_dwordx4 v[58:59], v[2:5], off glc slc
	s_and_saveexec_b64 s[76:77], vcc
	s_cbranch_execz .LBB13_139
; %bb.141:                              ;   in Loop: Header=BB13_140 Depth=3
	ds_read_b64 v[58:59], v47 offset:8
	s_waitcnt lgkmcnt(0)
	v_add_co_u32_e64 v58, s[26:27], v35, v58
	v_addc_co_u32_e64 v59, s[26:27], v36, v59, s[26:27]
	global_store_dwordx4 v[58:59], v[14:17], off offset:-3072 glc slc
	global_store_dwordx4 v[58:59], v[10:13], off offset:-2048 glc slc
	;; [unrolled: 1-line block ×3, first 2 shown]
	global_store_dwordx4 v[58:59], v[2:5], off glc slc
	s_branch .LBB13_139
.LBB13_142:                             ;   in Loop: Header=BB13_53 Depth=2
	s_or_b64 exec, exec, s[74:75]
.LBB13_143:                             ;   in Loop: Header=BB13_53 Depth=2
	s_or_b64 exec, exec, s[28:29]
	v_and_b32_e32 v3, 0xfff, v57
	v_mov_b32_e32 v6, 0
	v_cmp_ne_u32_e32 vcc, 0, v3
	s_mov_b64 s[26:27], 0
                                        ; implicit-def: $vgpr2
                                        ; implicit-def: $vgpr7
                                        ; implicit-def: $vgpr4
	s_and_saveexec_b64 s[74:75], vcc
	s_cbranch_execz .LBB13_176
; %bb.144:                              ;   in Loop: Header=BB13_53 Depth=2
	v_lshlrev_b32_e32 v2, 6, v39
	v_sub_u32_e32 v2, v40, v2
	v_ashrrev_i32_e32 v4, 31, v2
	v_lshrrev_b32_e32 v4, 26, v4
	v_add_u32_e32 v4, v2, v4
	v_ashrrev_i32_e32 v5, 6, v4
	v_and_b32_e32 v4, 0xffffffc0, v4
	v_sub_u32_e32 v8, v2, v4
	v_lshlrev_b32_e32 v2, 4, v8
	v_lshl_add_u32 v2, v5, 10, v2
	v_and_b32_e32 v10, 0x3ff, v57
	v_sub_u32_e32 v11, v3, v2
	v_lshrrev_b32_e32 v3, 10, v3
	v_cmp_lt_u32_e32 vcc, 15, v10
	v_addc_co_u32_e64 v3, s[26:27], 0, v3, vcc
	v_sub_u32_e32 v9, v3, v5
	v_cmp_lt_i32_e64 s[26:27], 15, v11
	s_and_saveexec_b64 s[76:77], s[26:27]
	s_cbranch_execz .LBB13_173
; %bb.145:                              ;   in Loop: Header=BB13_53 Depth=2
	ds_read_b64 v[6:7], v47
	v_and_b32_e32 v3, 0x7ffff000, v57
	v_add_u32_e32 v12, v2, v3
	v_ashrrev_i32_e32 v13, 31, v12
	v_cmp_lt_u32_e64 s[26:27], 1, v56
	s_mov_b64 s[78:79], 0
	s_branch .LBB13_147
.LBB13_146:                             ;   in Loop: Header=BB13_147 Depth=3
	s_or_b64 exec, exec, s[88:89]
	v_sub_u32_e32 v11, v11, v42
	v_cmp_gt_i32_e64 s[28:29], 16, v11
	s_or_b64 s[78:79], s[28:29], s[78:79]
	v_add_co_u32_e64 v12, s[28:29], v12, v42
	v_sub_u32_e32 v9, v9, v20
	v_addc_co_u32_e64 v13, s[28:29], v13, v43, s[28:29]
	s_andn2_b64 exec, exec, s[78:79]
	s_cbranch_execz .LBB13_172
.LBB13_147:                             ;   Parent Loop BB13_4 Depth=1
                                        ;     Parent Loop BB13_53 Depth=2
                                        ; =>    This Inner Loop Header: Depth=3
	v_add_co_u32_e64 v2, s[28:29], v0, v12
	v_addc_co_u32_e64 v3, s[28:29], v1, v13, s[28:29]
	global_load_dwordx4 v[2:5], v[2:3], off glc slc
	s_waitcnt lgkmcnt(0)
	v_add_co_u32_e64 v14, s[28:29], v6, v12
	v_addc_co_u32_e64 v15, s[28:29], v7, v13, s[28:29]
	s_waitcnt vmcnt(0)
	global_store_dwordx4 v[14:15], v[2:5], off glc slc
	s_and_saveexec_b64 s[88:89], s[26:27]
	s_cbranch_execz .LBB13_146
; %bb.148:                              ;   in Loop: Header=BB13_147 Depth=3
	ds_read_b64 v[14:15], v47 offset:8
	s_waitcnt lgkmcnt(0)
	v_add_co_u32_e64 v14, s[28:29], v12, v14
	v_addc_co_u32_e64 v15, s[28:29], v13, v15, s[28:29]
	global_store_dwordx4 v[14:15], v[2:5], off glc slc
	s_branch .LBB13_146
.LBB13_149:                             ;   in Loop: Header=BB13_53 Depth=2
	s_or_b64 exec, exec, s[60:61]
	s_and_saveexec_b64 s[60:61], s[62:63]
	s_xor_b64 s[60:61], exec, s[60:61]
	s_cbranch_execz .LBB13_151
; %bb.150:                              ;   in Loop: Header=BB13_53 Depth=2
	ds_write_b32 v0, v48
	s_trap 2
.LBB13_151:                             ;   in Loop: Header=BB13_53 Depth=2
	s_or_b64 exec, exec, s[28:29]
	;;#ASMSTART
	s_wakeup
	;;#ASMEND
.LBB13_152:                             ;   in Loop: Header=BB13_53 Depth=2
	s_or_b64 exec, exec, s[26:27]
	s_andn2_saveexec_b64 s[24:25], s[24:25]
	s_cbranch_execz .LBB13_60
.LBB13_153:                             ;   in Loop: Header=BB13_53 Depth=2
	s_waitcnt vmcnt(0) lgkmcnt(0)
	buffer_wbinvl1_vol
	s_barrier
	s_or_b64 exec, exec, s[24:25]
	s_and_saveexec_b64 s[24:25], s[16:17]
	s_xor_b64 s[24:25], exec, s[24:25]
	s_cbranch_execz .LBB13_61
.LBB13_154:                             ;   in Loop: Header=BB13_53 Depth=2
	s_and_saveexec_b64 s[26:27], s[56:57]
	s_cbranch_execz .LBB13_171
; %bb.155:                              ;   in Loop: Header=BB13_53 Depth=2
	s_mov_b64 s[60:61], exec
	v_mbcnt_lo_u32_b32 v0, s60, 0
	v_mbcnt_hi_u32_b32 v0, s61, v0
	v_cmp_eq_u32_e32 vcc, 0, v0
	s_waitcnt vmcnt(0) lgkmcnt(0)
	buffer_wbinvl1_vol
	s_and_saveexec_b64 s[28:29], vcc
	s_cbranch_execz .LBB13_157
; %bb.156:                              ;   in Loop: Header=BB13_53 Depth=2
	s_bcnt1_i32_b64 s60, s[60:61]
	v_mov_b32_e32 v0, s60
	v_mov_b32_e32 v1, v18
	ds_add_u64 v0, v[0:1]
	s_trap 2
.LBB13_157:                             ;   in Loop: Header=BB13_53 Depth=2
	s_or_b64 exec, exec, s[28:29]
	s_trap 2
	ds_read_b64 v[0:1], v0
	s_waitcnt lgkmcnt(0)
	v_add_co_u32_e32 v23, vcc, 2, v23
	v_addc_co_u32_e32 v24, vcc, 0, v24, vcc
	v_cmp_lt_u64_e32 vcc, v[0:1], v[23:24]
	s_and_saveexec_b64 s[28:29], vcc
	s_cbranch_execz .LBB13_170
; %bb.158:                              ;   in Loop: Header=BB13_53 Depth=2
	s_mov_b32 s88, 0
	s_mov_b64 s[60:61], 0
                                        ; implicit-def: $sgpr62_sgpr63
                                        ; implicit-def: $sgpr72_sgpr73
	s_branch .LBB13_160
.LBB13_159:                             ;   in Loop: Header=BB13_160 Depth=3
	s_or_b64 exec, exec, s[76:77]
	s_and_b64 s[74:75], exec, s[78:79]
	s_or_b64 s[60:61], s[74:75], s[60:61]
	s_andn2_b64 s[62:63], s[62:63], exec
	s_and_b64 s[74:75], s[72:73], exec
	s_or_b64 s[62:63], s[62:63], s[74:75]
	s_andn2_b64 exec, exec, s[60:61]
	s_cbranch_execz .LBB13_168
.LBB13_160:                             ;   Parent Loop BB13_4 Depth=1
                                        ;     Parent Loop BB13_53 Depth=2
                                        ; =>    This Inner Loop Header: Depth=3
	s_add_i32 s88, s88, 1
	s_cmpk_lg_i32 s88, 0x2710
	s_cselect_b64 s[74:75], -1, 0
	s_and_b64 vcc, exec, s[74:75]
	s_cbranch_vccz .LBB13_162
; %bb.161:                              ;   in Loop: Header=BB13_160 Depth=3
	s_mov_b64 s[78:79], -1
	s_or_b64 s[72:73], s[72:73], exec
	s_and_saveexec_b64 s[76:77], s[74:75]
	s_cbranch_execz .LBB13_159
	s_branch .LBB13_163
.LBB13_162:                             ;   in Loop: Header=BB13_160 Depth=3
	s_trap 2
	ds_read_b64 v[0:1], v0
	s_andn2_b64 s[74:75], s[74:75], exec
	s_mov_b32 s88, 0
	s_waitcnt lgkmcnt(0)
	flat_load_dword v0, v[0:1] glc
	s_waitcnt vmcnt(0) lgkmcnt(0)
	buffer_wbinvl1_vol
	v_cmp_eq_u32_e32 vcc, 0, v0
	s_and_b64 s[76:77], vcc, exec
	s_or_b64 s[74:75], s[74:75], s[76:77]
	s_mov_b64 s[78:79], -1
	s_or_b64 s[72:73], s[72:73], exec
	s_and_saveexec_b64 s[76:77], s[74:75]
	s_cbranch_execz .LBB13_159
.LBB13_163:                             ;   in Loop: Header=BB13_160 Depth=3
	s_sleep 1
	s_trap 2
	ds_read_b64 v[0:1], v0
	s_waitcnt lgkmcnt(0)
	s_andn2_b64 s[72:73], s[72:73], exec
	v_cmp_ge_u64_e32 vcc, v[0:1], v[23:24]
	s_orn2_b64 s[78:79], vcc, exec
	s_branch .LBB13_159
.LBB13_164:                             ;   in Loop: Header=BB13_53 Depth=2
	s_or_b64 exec, exec, s[74:75]
	s_and_saveexec_b64 s[74:75], s[76:77]
	s_xor_b64 s[74:75], exec, s[74:75]
	s_cbranch_execz .LBB13_166
; %bb.165:                              ;   in Loop: Header=BB13_53 Depth=2
	ds_write_b32 v0, v48
	s_trap 2
.LBB13_166:                             ;   in Loop: Header=BB13_53 Depth=2
	s_or_b64 exec, exec, s[28:29]
	;;#ASMSTART
	s_wakeup
	;;#ASMEND
.LBB13_167:                             ;   in Loop: Header=BB13_53 Depth=2
	s_or_b64 exec, exec, s[26:27]
	s_andn2_saveexec_b64 s[24:25], s[24:25]
	s_cbranch_execnz .LBB13_117
	s_branch .LBB13_118
.LBB13_168:                             ;   in Loop: Header=BB13_53 Depth=2
	s_or_b64 exec, exec, s[60:61]
	s_and_saveexec_b64 s[60:61], s[62:63]
	s_xor_b64 s[60:61], exec, s[60:61]
	s_cbranch_execz .LBB13_170
; %bb.169:                              ;   in Loop: Header=BB13_53 Depth=2
	ds_write_b32 v0, v48
	s_trap 2
.LBB13_170:                             ;   in Loop: Header=BB13_53 Depth=2
	s_or_b64 exec, exec, s[28:29]
	;;#ASMSTART
	s_wakeup
	;;#ASMEND
.LBB13_171:                             ;   in Loop: Header=BB13_53 Depth=2
	s_or_b64 exec, exec, s[26:27]
	s_andn2_saveexec_b64 s[24:25], s[24:25]
	s_cbranch_execnz .LBB13_62
	s_branch .LBB13_63
.LBB13_172:                             ;   in Loop: Header=BB13_53 Depth=2
	s_or_b64 exec, exec, s[78:79]
.LBB13_173:                             ;   in Loop: Header=BB13_53 Depth=2
	s_or_b64 exec, exec, s[76:77]
	v_and_b32_e32 v2, 15, v57
	v_cndmask_b32_e32 v2, v10, v2, vcc
	v_mov_b32_e32 v6, 0
	v_cmp_ne_u32_e64 s[26:27], 0, v2
	s_mov_b64 s[28:29], 0
                                        ; implicit-def: $vgpr7
                                        ; implicit-def: $vgpr4
	s_and_saveexec_b64 s[76:77], s[26:27]
	s_cbranch_execz .LBB13_175
; %bb.174:                              ;   in Loop: Header=BB13_53 Depth=2
	v_mov_b32_e32 v3, 0x7ffffc00
	v_mov_b32_e32 v4, 0x7ffffff0
	v_cndmask_b32_e32 v3, v3, v4, vcc
	v_cmp_lt_i32_e32 vcc, 0, v9
	v_and_b32_e32 v6, v3, v57
	v_cndmask_b32_e32 v3, 0, v20, vcc
	v_sub_u32_e32 v3, v3, v9
	v_lshl_add_u32 v7, v3, 6, v8
	v_ashrrev_i32_e32 v3, 31, v7
	v_lshrrev_b32_e32 v3, 26, v3
	v_add_u32_e32 v3, v7, v3
	s_mov_b64 s[28:29], exec
	v_ashrrev_i32_e32 v4, 6, v3
.LBB13_175:                             ;   in Loop: Header=BB13_53 Depth=2
	s_or_b64 exec, exec, s[76:77]
	s_and_b64 s[26:27], s[28:29], exec
.LBB13_176:                             ;   in Loop: Header=BB13_53 Depth=2
	s_or_b64 exec, exec, s[74:75]
	v_mov_b32_e32 v57, v2
	s_and_saveexec_b64 s[28:29], s[26:27]
	s_cbranch_execz .LBB13_189
.LBB13_177:                             ;   in Loop: Header=BB13_53 Depth=2
	v_lshrrev_b32_e32 v2, 10, v57
	v_sub_u32_e32 v8, v2, v4
	v_ashrrev_i32_e32 v2, 31, v7
	v_cmp_lt_i32_e32 vcc, 0, v8
	v_lshrrev_b32_e32 v9, 26, v2
	s_and_saveexec_b64 s[74:75], vcc
	s_cbranch_execz .LBB13_183
; %bb.178:                              ;   in Loop: Header=BB13_53 Depth=2
	v_add_u32_e32 v5, v7, v9
	ds_read_b64 v[2:3], v47
	v_and_b32_e32 v5, 0xffffffc0, v5
	v_sub_u32_e32 v5, v7, v5
	v_lshlrev_b32_e32 v4, 10, v4
	v_add3_u32 v4, v5, v4, v6
	v_ashrrev_i32_e32 v5, 31, v4
	v_add_co_u32_e32 v10, vcc, 0x3c0, v4
	v_cmp_lt_u32_e64 s[26:27], 1, v56
	v_addc_co_u32_e32 v11, vcc, 0, v5, vcc
	s_mov_b64 s[76:77], 0
	s_branch .LBB13_180
.LBB13_179:                             ;   in Loop: Header=BB13_180 Depth=3
	s_or_b64 exec, exec, s[78:79]
	v_sub_u32_e32 v8, v8, v20
	v_cmp_gt_i32_e32 vcc, 1, v8
	s_or_b64 s[76:77], vcc, s[76:77]
	v_add_co_u32_e32 v10, vcc, v10, v42
	v_addc_co_u32_e32 v11, vcc, v11, v43, vcc
	s_andn2_b64 exec, exec, s[76:77]
	s_cbranch_execz .LBB13_182
.LBB13_180:                             ;   Parent Loop BB13_4 Depth=1
                                        ;     Parent Loop BB13_53 Depth=2
                                        ; =>    This Inner Loop Header: Depth=3
	v_add_co_u32_e32 v49, vcc, v0, v10
	v_addc_co_u32_e32 v50, vcc, v1, v11, vcc
	s_waitcnt lgkmcnt(0)
	v_add_co_u32_e32 v4, vcc, v2, v10
	v_addc_co_u32_e32 v5, vcc, v3, v11, vcc
	v_add_co_u32_e32 v12, vcc, 0xfffffc40, v49
	v_addc_co_u32_e32 v13, vcc, -1, v50, vcc
	flat_load_ubyte v12, v[12:13] glc slc
	v_add_co_u32_e32 v13, vcc, 0xfffffc80, v49
	v_addc_co_u32_e32 v14, vcc, -1, v50, vcc
	flat_load_ubyte v13, v[13:14] glc slc
	;; [unrolled: 3-line block ×15, first 2 shown]
	flat_load_ubyte v39, v[49:50] glc slc
	v_add_co_u32_e32 v37, vcc, s39, v4
	v_addc_co_u32_e32 v38, vcc, -1, v5, vcc
	s_waitcnt vmcnt(0) lgkmcnt(0)
	flat_store_byte v[37:38], v12 glc slc
	v_add_co_u32_e32 v37, vcc, s48, v4
	v_addc_co_u32_e32 v38, vcc, -1, v5, vcc
	flat_store_byte v[37:38], v13 glc slc
	v_add_co_u32_e32 v37, vcc, s49, v4
	v_addc_co_u32_e32 v38, vcc, -1, v5, vcc
	;; [unrolled: 3-line block ×14, first 2 shown]
	flat_store_byte v[37:38], v62 glc slc
	flat_store_byte v[4:5], v39 glc slc
	s_and_saveexec_b64 s[78:79], s[26:27]
	s_cbranch_execz .LBB13_179
; %bb.181:                              ;   in Loop: Header=BB13_180 Depth=3
	ds_read_b64 v[4:5], v47 offset:8
	s_waitcnt lgkmcnt(0)
	v_add_co_u32_e32 v4, vcc, v10, v4
	v_addc_co_u32_e32 v5, vcc, v11, v5, vcc
	v_add_co_u32_e32 v37, vcc, 0xfffffc40, v4
	v_addc_co_u32_e32 v38, vcc, -1, v5, vcc
	flat_store_byte v[37:38], v12 glc slc
	v_add_co_u32_e32 v37, vcc, 0xfffffc80, v4
	v_addc_co_u32_e32 v38, vcc, -1, v5, vcc
	v_add_co_u32_e32 v12, vcc, 0xfffffcc0, v4
	flat_store_byte v[37:38], v13 glc slc
	v_addc_co_u32_e32 v13, vcc, -1, v5, vcc
	flat_store_byte v[12:13], v14 glc slc
	v_add_co_u32_e32 v12, vcc, 0xfffffd00, v4
	v_addc_co_u32_e32 v13, vcc, -1, v5, vcc
	flat_store_byte v[12:13], v15 glc slc
	v_add_co_u32_e32 v12, vcc, 0xfffffd40, v4
	;; [unrolled: 3-line block ×12, first 2 shown]
	v_addc_co_u32_e32 v13, vcc, -1, v5, vcc
	flat_store_byte v[12:13], v62 glc slc
	flat_store_byte v[4:5], v39 glc slc
	s_branch .LBB13_179
.LBB13_182:                             ;   in Loop: Header=BB13_53 Depth=2
	s_or_b64 exec, exec, s[76:77]
	v_mov_b32_e32 v37, 2
	v_mov_b32_e32 v38, -1
.LBB13_183:                             ;   in Loop: Header=BB13_53 Depth=2
	s_or_b64 exec, exec, s[74:75]
	v_and_b32_e32 v5, 0xfffffc00, v57
	v_cmp_ne_u32_e32 vcc, v57, v5
	s_and_b64 exec, exec, vcc
	s_cbranch_execz .LBB13_189
; %bb.184:                              ;   in Loop: Header=BB13_53 Depth=2
	v_add_u32_e32 v0, v7, v9
	v_and_b32_e32 v0, 0xffffffc0, v0
	v_sub_u32_e32 v0, v7, v0
	v_lshlrev_b32_e32 v1, 6, v8
	v_sub_u32_e32 v7, v0, v1
	v_and_b32_e32 v0, 0x3ff, v57
	v_sub_u32_e32 v4, v0, v7
	v_cmp_lt_i32_e32 vcc, 0, v4
	s_and_b64 exec, exec, vcc
	s_cbranch_execz .LBB13_189
; %bb.185:                              ;   in Loop: Header=BB13_53 Depth=2
	v_mov_b32_e32 v0, 0x310
	v_mov_b32_e32 v1, 0x318
	v_cndmask_b32_e64 v0, v0, v1, s[24:25]
	v_add_u32_e32 v0, v0, v0
	ds_read_b64 v[0:1], v0
	v_add3_u32 v5, v5, v6, v7
	v_ashrrev_i32_e32 v6, 31, v5
	v_cmp_lt_u32_e32 vcc, 1, v56
	s_mov_b64 s[26:27], 0
	s_waitcnt lgkmcnt(0)
	ds_read_b64 v[2:3], v0 offset:720
	s_branch .LBB13_187
.LBB13_186:                             ;   in Loop: Header=BB13_187 Depth=3
	s_or_b64 exec, exec, s[74:75]
	v_sub_u32_e32 v4, v4, v52
	v_cmp_gt_i32_e64 s[24:25], 1, v4
	s_or_b64 s[26:27], s[24:25], s[26:27]
	v_ashrrev_i32_e32 v7, 31, v52
	v_add_co_u32_e64 v5, s[24:25], v5, v52
	v_addc_co_u32_e64 v6, s[24:25], v6, v7, s[24:25]
	s_andn2_b64 exec, exec, s[26:27]
	s_cbranch_execz .LBB13_189
.LBB13_187:                             ;   Parent Loop BB13_4 Depth=1
                                        ;     Parent Loop BB13_53 Depth=2
                                        ; =>    This Inner Loop Header: Depth=3
	s_waitcnt lgkmcnt(0)
	v_add_co_u32_e64 v7, s[24:25], v2, v5
	v_addc_co_u32_e64 v8, s[24:25], v3, v6, s[24:25]
	flat_load_ubyte v7, v[7:8] glc slc
	v_add_co_u32_e64 v8, s[24:25], v0, v5
	v_addc_co_u32_e64 v9, s[24:25], v1, v6, s[24:25]
	s_waitcnt vmcnt(0) lgkmcnt(0)
	flat_store_byte v[8:9], v7 glc slc
	s_and_saveexec_b64 s[74:75], vcc
	s_cbranch_execz .LBB13_186
; %bb.188:                              ;   in Loop: Header=BB13_187 Depth=3
	ds_read_b64 v[8:9], v47 offset:8
	s_waitcnt lgkmcnt(0)
	v_add_co_u32_e64 v8, s[24:25], v5, v8
	v_addc_co_u32_e64 v9, s[24:25], v6, v9, s[24:25]
	flat_store_byte v[8:9], v7 glc slc
	s_branch .LBB13_186
.LBB13_189:                             ;   in Loop: Header=BB13_53 Depth=2
	s_or_b64 exec, exec, s[28:29]
	v_cmp_ne_u32_e32 vcc, 0, v30
	v_and_b32_e32 v0, 16, v51
	s_and_b64 s[24:25], vcc, s[72:73]
	v_cmp_ne_u32_e32 vcc, 0, v0
	s_and_b64 s[24:25], s[24:25], vcc
	s_and_saveexec_b64 s[26:27], s[24:25]
	s_cbranch_execz .LBB13_193
; %bb.190:                              ;   in Loop: Header=BB13_53 Depth=2
	ds_read_b64 v[0:1], v45 offset:16
	s_waitcnt lgkmcnt(0)
	v_cmp_ne_u64_e32 vcc, 0, v[0:1]
	s_and_saveexec_b64 s[28:29], vcc
	s_cbranch_execz .LBB13_192
; %bb.191:                              ;   in Loop: Header=BB13_53 Depth=2
	ds_read_b32 v2, v0 offset:12
	v_and_b32_e32 v3, 7, v25
	v_mad_u64_u32 v[0:1], s[72:73], v3, 24, v[0:1]
	s_waitcnt lgkmcnt(0)
	v_add_u32_e32 v2, v2, v46
	v_ashrrev_i32_e32 v3, 31, v2
	flat_store_dwordx2 v[0:1], v[2:3] offset:8
.LBB13_192:                             ;   in Loop: Header=BB13_53 Depth=2
	s_or_b64 exec, exec, s[28:29]
	ds_read_b64 v[0:1], v45 offset:8
	v_add_co_u32_e32 v25, vcc, 1, v25
	v_addc_co_u32_e32 v26, vcc, 0, v26, vcc
	ds_write_b64 v45, v[25:26]
	s_waitcnt lgkmcnt(0)
	flat_store_dwordx2 v[0:1], v[25:26] offset:104 glc slc
.LBB13_193:                             ;   in Loop: Header=BB13_53 Depth=2
	s_or_b64 exec, exec, s[26:27]
	v_cmp_ne_u32_e32 vcc, 0, v29
	v_and_b32_e32 v0, 32, v51
	s_and_b64 s[26:27], s[62:63], vcc
	v_cmp_ne_u32_e32 vcc, 0, v0
	s_and_b64 s[26:27], s[26:27], vcc
	s_and_saveexec_b64 s[28:29], s[26:27]
	s_cbranch_execz .LBB13_195
; %bb.194:                              ;   in Loop: Header=BB13_53 Depth=2
	ds_read_b64 v[0:1], v45 offset:8
	v_add_co_u32_e32 v25, vcc, 1, v25
	v_addc_co_u32_e32 v26, vcc, 0, v26, vcc
	ds_write_b64 v45, v[25:26]
	s_waitcnt lgkmcnt(0)
	flat_store_dwordx2 v[0:1], v[25:26] offset:104 glc slc
.LBB13_195:                             ;   in Loop: Header=BB13_53 Depth=2
	s_or_b64 exec, exec, s[28:29]
	ds_read_b32 v0, v0
	s_waitcnt lgkmcnt(0)
	v_cmp_lt_i32_e32 vcc, -1, v0
	s_and_saveexec_b64 s[28:29], vcc
	s_xor_b64 s[28:29], exec, s[28:29]
	s_cbranch_execnz .LBB13_204
; %bb.196:                              ;   in Loop: Header=BB13_53 Depth=2
	s_andn2_saveexec_b64 s[28:29], s[28:29]
	s_cbranch_execnz .LBB13_207
.LBB13_197:                             ;   in Loop: Header=BB13_53 Depth=2
	s_or_b64 exec, exec, s[28:29]
	s_and_saveexec_b64 s[22:23], s[16:17]
	s_xor_b64 s[22:23], exec, s[22:23]
	s_cbranch_execnz .LBB13_213
.LBB13_198:                             ;   in Loop: Header=BB13_53 Depth=2
	s_andn2_saveexec_b64 s[22:23], s[22:23]
	s_cbranch_execnz .LBB13_227
.LBB13_199:                             ;   in Loop: Header=BB13_53 Depth=2
	s_or_b64 exec, exec, s[22:23]
	s_and_saveexec_b64 s[22:23], s[24:25]
	s_cbranch_execnz .LBB13_228
.LBB13_200:                             ;   in Loop: Header=BB13_53 Depth=2
	s_or_b64 exec, exec, s[22:23]
	s_and_saveexec_b64 s[22:23], s[26:27]
	s_cbranch_execz .LBB13_202
.LBB13_201:                             ;   in Loop: Header=BB13_53 Depth=2
	ds_read_b64 v[0:1], v45 offset:32
	s_waitcnt lgkmcnt(0)
	flat_store_dwordx2 v[0:1], v[25:26] glc slc
.LBB13_202:                             ;   in Loop: Header=BB13_53 Depth=2
	s_or_b64 exec, exec, s[22:23]
	s_or_b64 exec, exec, s[60:61]
	s_and_saveexec_b64 s[22:23], s[20:21]
	s_cbranch_execz .LBB13_52
.LBB13_203:                             ;   in Loop: Header=BB13_53 Depth=2
	s_waitcnt lgkmcnt(0)
	ds_write_b32 v0, v18 offset:36
	s_branch .LBB13_52
.LBB13_204:                             ;   in Loop: Header=BB13_53 Depth=2
	v_and_b32_e32 v0, 4, v51
	v_cmp_ne_u32_e32 vcc, 0, v0
	s_and_saveexec_b64 s[62:63], vcc
	s_cbranch_execz .LBB13_206
; %bb.205:                              ;   in Loop: Header=BB13_53 Depth=2
	ds_read2_b32 v[0:1], v0 offset0:2 offset1:4
	ds_read_b32 v4, v45 offset:64
	s_waitcnt lgkmcnt(0)
	v_add_u32_e32 v2, v0, v46
	v_ashrrev_i32_e32 v0, 31, v1
	v_add_co_u32_e32 v1, vcc, v25, v1
	v_ashrrev_i32_e32 v3, 31, v2
	v_addc_co_u32_e32 v5, vcc, v26, v0, vcc
	v_ashrrev_i32_e32 v0, 31, v4
	v_mul_lo_u32 v6, v1, v0
	v_mad_u64_u32 v[0:1], s[72:73], v1, v4, v[2:3]
	v_mul_lo_u32 v2, v5, v4
	v_add3_u32 v1, v2, v1, v6
	ds_max_i64 v45, v[0:1] offset:56
.LBB13_206:                             ;   in Loop: Header=BB13_53 Depth=2
	s_or_b64 exec, exec, s[62:63]
                                        ; implicit-def: $vgpr31_vgpr32
	s_andn2_saveexec_b64 s[28:29], s[28:29]
	s_cbranch_execz .LBB13_197
.LBB13_207:                             ;   in Loop: Header=BB13_53 Depth=2
	s_and_saveexec_b64 s[62:63], s[22:23]
	s_cbranch_execz .LBB13_212
; %bb.208:                              ;   in Loop: Header=BB13_53 Depth=2
	s_mov_b64 s[72:73], exec
	s_mov_b64 s[22:23], s[40:41]
.LBB13_209:                             ;   Parent Loop BB13_4 Depth=1
                                        ;     Parent Loop BB13_53 Depth=2
                                        ; =>    This Inner Loop Header: Depth=3
	s_ff1_i32_b64 s76, s[72:73]
	v_readlane_b32 s77, v32, s76
	v_readlane_b32 s78, v31, s76
	v_mov_b32_e32 v0, s78
	v_mov_b32_e32 v1, s77
	v_cmp_gt_i64_e32 vcc, s[22:23], v[0:1]
	s_and_b64 s[74:75], vcc, exec
	s_cselect_b32 s23, s23, s77
	s_cselect_b32 s22, s22, s78
	s_lshl_b64 s[74:75], 1, s76
	s_andn2_b64 s[72:73], s[72:73], s[74:75]
	s_cmp_lg_u64 s[72:73], 0
	s_cbranch_scc1 .LBB13_209
; %bb.210:                              ;   in Loop: Header=BB13_53 Depth=2
	v_mbcnt_lo_u32_b32 v0, exec_lo, 0
	v_mbcnt_hi_u32_b32 v0, exec_hi, v0
	v_cmp_eq_u32_e32 vcc, 0, v0
	s_and_saveexec_b64 s[72:73], vcc
	s_xor_b64 s[72:73], exec, s[72:73]
	s_cbranch_execz .LBB13_212
; %bb.211:                              ;   in Loop: Header=BB13_53 Depth=2
	v_mov_b32_e32 v0, s22
	v_mov_b32_e32 v1, s23
	ds_max_i64 v0, v[0:1]
	s_trap 2
.LBB13_212:                             ;   in Loop: Header=BB13_53 Depth=2
	s_or_b64 exec, exec, s[62:63]
	s_or_b64 exec, exec, s[28:29]
	s_and_saveexec_b64 s[22:23], s[16:17]
	s_xor_b64 s[22:23], exec, s[22:23]
	s_cbranch_execz .LBB13_198
.LBB13_213:                             ;   in Loop: Header=BB13_53 Depth=2
	s_and_saveexec_b64 s[28:29], s[56:57]
	s_cbranch_execz .LBB13_226
; %bb.214:                              ;   in Loop: Header=BB13_53 Depth=2
	s_mov_b64 s[72:73], exec
	v_mbcnt_lo_u32_b32 v0, s72, 0
	v_mbcnt_hi_u32_b32 v0, s73, v0
	v_cmp_eq_u32_e32 vcc, 0, v0
	s_waitcnt vmcnt(0) lgkmcnt(0)
	buffer_wbinvl1_vol
	s_and_saveexec_b64 s[62:63], vcc
	s_cbranch_execz .LBB13_216
; %bb.215:                              ;   in Loop: Header=BB13_53 Depth=2
	s_bcnt1_i32_b64 s72, s[72:73]
	v_mov_b32_e32 v0, s72
	v_mov_b32_e32 v1, v18
	ds_add_u64 v0, v[0:1]
	s_trap 2
.LBB13_216:                             ;   in Loop: Header=BB13_53 Depth=2
	s_or_b64 exec, exec, s[62:63]
	s_trap 2
	ds_read_b64 v[0:1], v0
	s_waitcnt lgkmcnt(0)
	v_add_co_u32_e32 v23, vcc, 2, v23
	v_addc_co_u32_e32 v24, vcc, 0, v24, vcc
	v_cmp_lt_u64_e32 vcc, v[0:1], v[23:24]
	s_and_saveexec_b64 s[62:63], vcc
	s_cbranch_execz .LBB13_225
; %bb.217:                              ;   in Loop: Header=BB13_53 Depth=2
	s_mov_b32 s92, 0
	s_mov_b64 s[72:73], 0
                                        ; implicit-def: $sgpr74_sgpr75
                                        ; implicit-def: $sgpr76_sgpr77
	s_branch .LBB13_219
.LBB13_218:                             ;   in Loop: Header=BB13_219 Depth=3
	s_or_b64 exec, exec, s[88:89]
	s_and_b64 s[78:79], exec, s[90:91]
	s_or_b64 s[72:73], s[78:79], s[72:73]
	s_andn2_b64 s[74:75], s[74:75], exec
	s_and_b64 s[78:79], s[76:77], exec
	s_or_b64 s[74:75], s[74:75], s[78:79]
	s_andn2_b64 exec, exec, s[72:73]
	s_cbranch_execz .LBB13_223
.LBB13_219:                             ;   Parent Loop BB13_4 Depth=1
                                        ;     Parent Loop BB13_53 Depth=2
                                        ; =>    This Inner Loop Header: Depth=3
	s_add_i32 s92, s92, 1
	s_cmpk_lg_i32 s92, 0x2710
	s_cselect_b64 s[78:79], -1, 0
	s_and_b64 vcc, exec, s[78:79]
	s_cbranch_vccz .LBB13_221
; %bb.220:                              ;   in Loop: Header=BB13_219 Depth=3
	s_mov_b64 s[90:91], -1
	s_or_b64 s[76:77], s[76:77], exec
	s_and_saveexec_b64 s[88:89], s[78:79]
	s_cbranch_execz .LBB13_218
	s_branch .LBB13_222
.LBB13_221:                             ;   in Loop: Header=BB13_219 Depth=3
	s_trap 2
	ds_read_b64 v[0:1], v0
	s_andn2_b64 s[78:79], s[78:79], exec
	s_mov_b32 s92, 0
	s_waitcnt lgkmcnt(0)
	flat_load_dword v0, v[0:1] glc
	s_waitcnt vmcnt(0) lgkmcnt(0)
	buffer_wbinvl1_vol
	v_cmp_eq_u32_e32 vcc, 0, v0
	s_and_b64 s[88:89], vcc, exec
	s_or_b64 s[78:79], s[78:79], s[88:89]
	s_mov_b64 s[90:91], -1
	s_or_b64 s[76:77], s[76:77], exec
	s_and_saveexec_b64 s[88:89], s[78:79]
	s_cbranch_execz .LBB13_218
.LBB13_222:                             ;   in Loop: Header=BB13_219 Depth=3
	s_sleep 1
	s_trap 2
	ds_read_b64 v[0:1], v0
	s_waitcnt lgkmcnt(0)
	s_andn2_b64 s[76:77], s[76:77], exec
	v_cmp_ge_u64_e32 vcc, v[0:1], v[23:24]
	s_orn2_b64 s[90:91], vcc, exec
	s_branch .LBB13_218
.LBB13_223:                             ;   in Loop: Header=BB13_53 Depth=2
	s_or_b64 exec, exec, s[72:73]
	s_and_saveexec_b64 s[72:73], s[74:75]
	s_xor_b64 s[72:73], exec, s[72:73]
	s_cbranch_execz .LBB13_225
; %bb.224:                              ;   in Loop: Header=BB13_53 Depth=2
	ds_write_b32 v0, v48
	s_trap 2
.LBB13_225:                             ;   in Loop: Header=BB13_53 Depth=2
	s_or_b64 exec, exec, s[62:63]
	;;#ASMSTART
	s_wakeup
	;;#ASMEND
.LBB13_226:                             ;   in Loop: Header=BB13_53 Depth=2
	s_or_b64 exec, exec, s[28:29]
	s_andn2_saveexec_b64 s[22:23], s[22:23]
	s_cbranch_execz .LBB13_199
.LBB13_227:                             ;   in Loop: Header=BB13_53 Depth=2
	s_waitcnt vmcnt(0) lgkmcnt(0)
	buffer_wbinvl1_vol
	s_barrier
	s_or_b64 exec, exec, s[22:23]
	s_and_saveexec_b64 s[22:23], s[24:25]
	s_cbranch_execz .LBB13_200
.LBB13_228:                             ;   in Loop: Header=BB13_53 Depth=2
	ds_read_b64 v[0:1], v45 offset:40
	s_waitcnt lgkmcnt(0)
	flat_store_dwordx2 v[0:1], v[25:26] glc slc
	s_or_b64 exec, exec, s[22:23]
	s_and_saveexec_b64 s[22:23], s[26:27]
	s_cbranch_execnz .LBB13_201
	s_branch .LBB13_202
.LBB13_229:                             ;   in Loop: Header=BB13_4 Depth=1
	s_or_b64 exec, exec, s[58:59]
	buffer_load_dword v33, off, s[0:3], s32 offset:408 ; 4-byte Folded Reload
	v_and_b32_e32 v0, 0x800, v51
	v_cmp_eq_u32_e32 vcc, 0, v0
	s_and_b64 s[18:19], exec, vcc
	s_mov_b64 exec, s[18:19]
	s_cbranch_execz .LBB13_258
; %bb.230:                              ;   in Loop: Header=BB13_4 Depth=1
	v_and_b32_e32 v0, 48, v51
	v_cmp_ne_u32_e32 vcc, 0, v0
	s_and_saveexec_b64 s[18:19], vcc
	s_cbranch_execz .LBB13_232
; %bb.231:                              ;   in Loop: Header=BB13_4 Depth=1
	v_mov_b32_e32 v0, 0x68
	v_mov_b32_e32 v1, 0
	flat_store_dwordx2 v[0:1], v[25:26]
.LBB13_232:                             ;   in Loop: Header=BB13_4 Depth=1
	s_or_b64 exec, exec, s[18:19]
	v_and_b32_e32 v0, 0x88, v51
	v_cmp_eq_u32_e32 vcc, s66, v0
	s_and_saveexec_b64 s[20:21], vcc
	s_cbranch_execz .LBB13_242
; %bb.233:                              ;   in Loop: Header=BB13_4 Depth=1
	v_add_u32_e32 v0, -1, v25
	v_and_b32_e32 v0, 7, v0
	v_mul_hi_u32_u24_e32 v1, 24, v0
	v_mul_u32_u24_e32 v0, 24, v0
	flat_load_dwordx2 v[2:3], v[0:1] offset:8 glc
	s_waitcnt vmcnt(0) lgkmcnt(0)
	v_cmp_ne_u64_e32 vcc, -1, v[2:3]
	v_and_b32_e32 v2, 64, v51
	v_cmp_eq_u32_e64 s[18:19], 0, v2
	s_and_b64 s[18:19], s[18:19], vcc
	s_and_b64 exec, exec, s[18:19]
	s_cbranch_execz .LBB13_242
; %bb.234:                              ;   in Loop: Header=BB13_4 Depth=1
	s_mov_b32 s60, 0
	s_mov_b64 s[18:19], 0
                                        ; implicit-def: $sgpr22_sgpr23
                                        ; implicit-def: $sgpr24_sgpr25
	s_branch .LBB13_236
.LBB13_235:                             ;   in Loop: Header=BB13_236 Depth=2
	s_or_b64 exec, exec, s[58:59]
	s_and_b64 s[26:27], exec, s[28:29]
	s_or_b64 s[18:19], s[26:27], s[18:19]
	s_andn2_b64 s[22:23], s[22:23], exec
	s_and_b64 s[26:27], s[24:25], exec
	s_or_b64 s[22:23], s[22:23], s[26:27]
	s_andn2_b64 exec, exec, s[18:19]
	s_cbranch_execz .LBB13_240
.LBB13_236:                             ;   Parent Loop BB13_4 Depth=1
                                        ; =>  This Inner Loop Header: Depth=2
	s_cmpk_lt_i32 s60, 0x270f
	s_cselect_b64 s[26:27], -1, 0
	s_and_b64 vcc, exec, s[26:27]
	s_cbranch_vccnz .LBB13_238
; %bb.237:                              ;   in Loop: Header=BB13_236 Depth=2
	s_trap 2
	ds_read_b64 v[2:3], v0
	s_andn2_b64 s[26:27], s[26:27], exec
	s_mov_b32 s60, 0
	s_waitcnt lgkmcnt(0)
	flat_load_dword v2, v[2:3] glc
	s_waitcnt vmcnt(0) lgkmcnt(0)
	buffer_wbinvl1_vol
	v_cmp_eq_u32_e32 vcc, 0, v2
	s_and_b64 s[28:29], vcc, exec
	s_or_b64 s[26:27], s[26:27], s[28:29]
	s_mov_b64 s[28:29], -1
	s_or_b64 s[24:25], s[24:25], exec
	s_and_saveexec_b64 s[58:59], s[26:27]
	s_cbranch_execz .LBB13_235
	s_branch .LBB13_239
.LBB13_238:                             ;   in Loop: Header=BB13_236 Depth=2
	s_add_i32 s60, s60, 1
                                        ; implicit-def: $vgpr2
	s_mov_b64 s[28:29], -1
	s_or_b64 s[24:25], s[24:25], exec
	s_and_saveexec_b64 s[58:59], s[26:27]
	s_cbranch_execz .LBB13_235
.LBB13_239:                             ;   in Loop: Header=BB13_236 Depth=2
	flat_load_dwordx2 v[3:4], v[0:1] offset:8 glc
	s_waitcnt vmcnt(0)
	s_andn2_b64 s[24:25], s[24:25], exec
	s_waitcnt lgkmcnt(0)
	v_cmp_eq_u64_e32 vcc, -1, v[3:4]
	s_orn2_b64 s[28:29], vcc, exec
	s_branch .LBB13_235
.LBB13_240:                             ;   in Loop: Header=BB13_4 Depth=1
	s_or_b64 exec, exec, s[18:19]
	s_and_saveexec_b64 s[18:19], s[22:23]
	s_xor_b64 s[18:19], exec, s[18:19]
	s_cbranch_execz .LBB13_242
; %bb.241:                              ;   in Loop: Header=BB13_4 Depth=1
	ds_write_b32 v0, v2
	s_trap 2
.LBB13_242:                             ;   in Loop: Header=BB13_4 Depth=1
	s_or_b64 exec, exec, s[20:21]
	v_cmp_ne_u32_e32 vcc, 1, v20
	s_and_b64 exec, exec, vcc
	s_cbranch_execz .LBB13_258
; %bb.243:                              ;   in Loop: Header=BB13_4 Depth=1
	s_and_saveexec_b64 s[18:19], s[16:17]
	s_xor_b64 s[16:17], exec, s[18:19]
	s_cbranch_execz .LBB13_256
; %bb.244:                              ;   in Loop: Header=BB13_4 Depth=1
	s_and_saveexec_b64 s[18:19], s[56:57]
	s_cbranch_execz .LBB13_255
; %bb.245:                              ;   in Loop: Header=BB13_4 Depth=1
	v_mov_b32_e32 v0, 1
	v_mov_b32_e32 v1, 0
	s_waitcnt vmcnt(0) lgkmcnt(0)
	buffer_wbinvl1_vol
	ds_add_u64 v0, v[0:1] offset:856
	ds_read_b64 v[0:1], v0 offset:856
	s_waitcnt lgkmcnt(0)
	v_ashrrev_i32_e32 v21, 31, v20
	v_cmp_lt_u64_e32 vcc, v[0:1], v[20:21]
	s_and_saveexec_b64 s[20:21], vcc
	s_cbranch_execz .LBB13_254
; %bb.246:                              ;   in Loop: Header=BB13_4 Depth=1
	s_mov_b32 s60, 0
	s_mov_b64 s[22:23], 0
                                        ; implicit-def: $sgpr24_sgpr25
                                        ; implicit-def: $sgpr26_sgpr27
	s_branch .LBB13_248
.LBB13_247:                             ;   in Loop: Header=BB13_248 Depth=2
	s_or_b64 exec, exec, s[58:59]
	s_and_b64 s[28:29], exec, s[56:57]
	s_or_b64 s[22:23], s[28:29], s[22:23]
	s_andn2_b64 s[24:25], s[24:25], exec
	s_and_b64 s[28:29], s[26:27], exec
	s_or_b64 s[24:25], s[24:25], s[28:29]
	s_andn2_b64 exec, exec, s[22:23]
	s_cbranch_execz .LBB13_252
.LBB13_248:                             ;   Parent Loop BB13_4 Depth=1
                                        ; =>  This Inner Loop Header: Depth=2
	s_add_i32 s60, s60, 1
	s_cmpk_lg_i32 s60, 0x2710
	s_cselect_b64 s[28:29], -1, 0
	s_and_b64 vcc, exec, s[28:29]
	s_cbranch_vccz .LBB13_250
; %bb.249:                              ;   in Loop: Header=BB13_248 Depth=2
	s_mov_b64 s[56:57], -1
	s_or_b64 s[26:27], s[26:27], exec
	s_and_saveexec_b64 s[58:59], s[28:29]
	s_cbranch_execz .LBB13_247
	s_branch .LBB13_251
.LBB13_250:                             ;   in Loop: Header=BB13_248 Depth=2
	s_trap 2
	ds_read_b64 v[0:1], v0
	s_andn2_b64 s[28:29], s[28:29], exec
	s_mov_b32 s60, 0
	s_waitcnt lgkmcnt(0)
	flat_load_dword v0, v[0:1] glc
	s_waitcnt vmcnt(0) lgkmcnt(0)
	buffer_wbinvl1_vol
	v_cmp_eq_u32_e32 vcc, 0, v0
	s_and_b64 s[56:57], vcc, exec
	s_or_b64 s[28:29], s[28:29], s[56:57]
	s_mov_b64 s[56:57], -1
	s_or_b64 s[26:27], s[26:27], exec
	s_and_saveexec_b64 s[58:59], s[28:29]
	s_cbranch_execz .LBB13_247
.LBB13_251:                             ;   in Loop: Header=BB13_248 Depth=2
	s_sleep 1
	ds_read_b64 v[0:1], v0 offset:856
	s_waitcnt lgkmcnt(0)
	s_andn2_b64 s[26:27], s[26:27], exec
	v_cmp_ge_u64_e32 vcc, v[0:1], v[20:21]
	s_orn2_b64 s[56:57], vcc, exec
	s_branch .LBB13_247
.LBB13_252:                             ;   in Loop: Header=BB13_4 Depth=1
	s_or_b64 exec, exec, s[22:23]
	s_and_saveexec_b64 s[22:23], s[24:25]
	s_xor_b64 s[22:23], exec, s[22:23]
	s_cbranch_execz .LBB13_254
; %bb.253:                              ;   in Loop: Header=BB13_4 Depth=1
	ds_write_b32 v0, v48
	s_trap 2
.LBB13_254:                             ;   in Loop: Header=BB13_4 Depth=1
	s_or_b64 exec, exec, s[20:21]
	;;#ASMSTART
	s_wakeup
	;;#ASMEND
.LBB13_255:                             ;   in Loop: Header=BB13_4 Depth=1
	s_or_b64 exec, exec, s[18:19]
.LBB13_256:                             ;   in Loop: Header=BB13_4 Depth=1
	s_andn2_saveexec_b64 s[16:17], s[16:17]
	s_cbranch_execz .LBB13_258
; %bb.257:                              ;   in Loop: Header=BB13_4 Depth=1
	s_waitcnt vmcnt(0) lgkmcnt(0)
	buffer_wbinvl1_vol
	s_barrier
.LBB13_258:                             ;   in Loop: Header=BB13_4 Depth=1
	s_or_b64 exec, exec, s[46:47]
                                        ; implicit-def: $vgpr2_vgpr3
                                        ; implicit-def: $vgpr6
                                        ; implicit-def: $vgpr4_vgpr5
                                        ; implicit-def: $vgpr10_vgpr11
                                        ; implicit-def: $vgpr8_vgpr9
.LBB13_259:                             ;   in Loop: Header=BB13_4 Depth=1
	s_andn2_saveexec_b64 s[16:17], s[44:45]
	s_cbranch_execz .LBB13_3
; %bb.260:                              ;   in Loop: Header=BB13_4 Depth=1
	v_add_co_u32_e32 v1, vcc, v6, v4
	v_addc_co_u32_e32 v4, vcc, v7, v5, vcc
	v_add_co_u32_e32 v5, vcc, v8, v2
	v_and_b32_e32 v0, 0x3ffffe00, v10
	v_addc_co_u32_e32 v6, vcc, v9, v3, vcc
	buffer_store_dword v9, off, s[0:3], s32 offset:68
	buffer_store_dword v8, off, s[0:3], s32 offset:64
	;; [unrolled: 1-line block ×7, first 2 shown]
	v_mov_b32_e32 v1, s70
	buffer_store_dword v1, off, s[0:3], s32 offset:96
	v_mov_b32_e32 v1, s69
	buffer_store_dword v1, off, s[0:3], s32 offset:100
	buffer_store_dword v37, off, s[0:3], s32 offset:116
	v_sub_u32_e64 v1, s69, 1 clamp
	v_readfirstlane_b32 s16, v1
	s_flbit_i32_b32 s16, s16
	s_sub_i32 s16, 32, s16
	s_lshl_b32 s16, 1, s16
	s_cmp_gt_u32 s69, 1
	s_cselect_b32 s22, s16, 1
	s_lshr_b32 s16, s69, 31
	v_mov_b32_e32 v1, s22
	s_add_i32 s69, s69, s16
	buffer_store_dword v1, off, s[0:3], s32 offset:104
	buffer_store_dword v1, off, s[0:3], s32 offset:132
	;; [unrolled: 1-line block ×3, first 2 shown]
	v_mov_b32_e32 v1, v18
	s_ashr_i32 s21, s69, 1
	s_mov_b32 s23, 1
	s_branch .LBB13_262
.LBB13_261:                             ;   in Loop: Header=BB13_262 Depth=2
	s_andn2_b64 vcc, exec, s[18:19]
	s_cbranch_vccz .LBB13_266
.LBB13_262:                             ;   Parent Loop BB13_4 Depth=1
                                        ; =>  This Inner Loop Header: Depth=2
	s_mov_b32 s24, s23
	s_ashr_i32 s16, s23, 31
	v_mul_hi_u32 v5, v2, s24
	v_mul_lo_u32 v6, v2, s16
	v_mul_lo_u32 v7, v3, s24
	;; [unrolled: 1-line block ×3, first 2 shown]
	s_mov_b32 s20, s22
	v_add_u32_e32 v5, v5, v6
	v_add_u32_e32 v5, v5, v7
	v_cmp_lt_u64_e32 vcc, v[0:1], v[4:5]
	v_mov_b32_e32 v5, 0
	v_mov_b32_e32 v6, 0
	s_cbranch_vccnz .LBB13_264
; %bb.263:                              ;   in Loop: Header=BB13_262 Depth=2
	v_cvt_f32_u32_e32 v5, v4
	v_sub_u32_e32 v6, 0, v4
	v_rcp_iflag_f32_e32 v5, v5
	v_mul_f32_e32 v5, 0x4f7ffffe, v5
	v_cvt_u32_f32_e32 v5, v5
	v_mul_lo_u32 v6, v6, v5
	v_mul_hi_u32 v6, v5, v6
	v_add_u32_e32 v5, v5, v6
	v_mul_hi_u32 v5, v0, v5
	v_mul_lo_u32 v6, v5, v4
	v_add_u32_e32 v7, 1, v5
	v_sub_u32_e32 v6, v0, v6
	v_sub_u32_e32 v8, v6, v4
	v_cmp_ge_u32_e32 vcc, v6, v4
	v_cndmask_b32_e32 v6, v6, v8, vcc
	v_cndmask_b32_e32 v5, v5, v7, vcc
	v_add_u32_e32 v7, 1, v5
	v_cmp_ge_u32_e32 vcc, v6, v4
	v_cndmask_b32_e32 v5, v5, v7, vcc
	v_mov_b32_e32 v6, v18
.LBB13_264:                             ;   in Loop: Header=BB13_262 Depth=2
	s_cmp_lt_i32 s24, s21
	v_cmp_gt_u64_e32 vcc, 2, v[5:6]
	s_cselect_b64 s[16:17], -1, 0
	s_cmp_ge_i32 s24, s21
	s_cselect_b64 s[22:23], -1, 0
	s_or_b64 s[22:23], s[22:23], vcc
	s_mov_b64 s[18:19], -1
	s_and_b64 vcc, exec, s[22:23]
                                        ; implicit-def: $sgpr23
                                        ; implicit-def: $sgpr22
	s_cbranch_vccnz .LBB13_261
; %bb.265:                              ;   in Loop: Header=BB13_262 Depth=2
	s_lshr_b32 s18, s20, 31
	s_lshl_b32 s23, s24, 1
	s_add_i32 s18, s20, s18
	v_mov_b32_e32 v4, s23
	s_ashr_i32 s22, s18, 1
	buffer_store_dword v4, off, s[0:3], s32 offset:120
	v_mov_b32_e32 v4, s22
	s_mov_b64 s[18:19], 0
	buffer_store_dword v4, off, s[0:3], s32 offset:132
	s_branch .LBB13_261
.LBB13_266:                             ;   in Loop: Header=BB13_4 Depth=1
	v_mov_b32_e32 v4, s24
	s_cmp_gt_i32 s24, 1
	s_mov_b32 s25, 2
	buffer_store_dword v4, off, s[0:3], s32 offset:108
	s_cbranch_scc1 .LBB13_268
; %bb.267:                              ;   in Loop: Header=BB13_4 Depth=1
	v_mov_b32_e32 v4, s24
	s_mov_b32 s25, s24
	buffer_store_dword v4, off, s[0:3], s32 offset:116
.LBB13_268:                             ;   in Loop: Header=BB13_4 Depth=1
	s_andn2_b64 vcc, exec, s[16:17]
	s_cbranch_vccnz .LBB13_273
; %bb.269:                              ;   in Loop: Header=BB13_4 Depth=1
	s_lshr_b32 s17, s20, 31
	s_lshl_b32 s16, s24, 1
	s_add_i32 s17, s20, s17
	v_mov_b32_e32 v4, s16
	s_ashr_i32 s17, s17, 1
	buffer_store_dword v4, off, s[0:3], s32 offset:120
	v_mov_b32_e32 v4, s17
	s_cmp_ge_i32 s16, s21
	buffer_store_dword v4, off, s[0:3], s32 offset:132
	s_cbranch_scc1 .LBB13_272
; %bb.270:                              ;   in Loop: Header=BB13_4 Depth=1
	s_ashr_i32 s18, s20, 31
	s_lshr_b32 s17, s18, 30
	s_lshl_b32 s16, s24, 2
	s_add_i32 s17, s20, s17
	v_mov_b32_e32 v4, s16
	s_ashr_i32 s17, s17, 2
	buffer_store_dword v4, off, s[0:3], s32 offset:120
	v_mov_b32_e32 v4, s17
	s_cmp_ge_i32 s16, s21
	buffer_store_dword v4, off, s[0:3], s32 offset:132
	s_cbranch_scc1 .LBB13_272
; %bb.271:                              ;   in Loop: Header=BB13_4 Depth=1
	s_lshr_b32 s17, s18, 29
	s_lshl_b32 s16, s24, 3
	s_add_i32 s17, s20, s17
	v_mov_b32_e32 v4, s16
	s_ashr_i32 s17, s17, 3
	buffer_store_dword v4, off, s[0:3], s32 offset:120
	v_mov_b32_e32 v4, s17
	buffer_store_dword v4, off, s[0:3], s32 offset:132
.LBB13_272:                             ;   in Loop: Header=BB13_4 Depth=1
	s_mov_b32 s24, s16
	s_mov_b32 s20, s17
.LBB13_273:                             ;   in Loop: Header=BB13_4 Depth=1
	s_cmp_lt_u32 s20, 2
	s_cselect_b64 s[18:19], -1, 0
	s_lshr_b32 s16, s24, 31
	s_add_i32 s16, s24, s16
	s_ashr_i32 s26, s16, 1
	s_add_i32 s16, s24, -2
	v_cmp_lt_i64_e32 vcc, v[0:1], v[2:3]
	s_cmp_lt_u32 s16, -3
	v_sub_u32_e64 v4, s20, 1 clamp
	s_cselect_b64 s[16:17], -1, 0
	v_ffbh_u32_e32 v4, v4
	v_cndmask_b32_e32 v0, v2, v0, vcc
	s_and_b64 s[20:21], s[16:17], exec
	v_sub_u32_e32 v6, 32, v4
	buffer_store_dword v0, off, s[0:3], s32 offset:92
	v_mov_b32_e32 v0, s26
	s_cselect_b32 s20, 2, 1
	v_mov_b32_e32 v5, 0
	v_cndmask_b32_e64 v4, v6, 0, s[18:19]
	buffer_store_dword v0, off, s[0:3], s32 offset:136
	v_mov_b32_e32 v0, s20
	s_and_b64 vcc, exec, s[18:19]
	s_mov_b32 s18, s34
	buffer_store_dword v4, off, s[0:3], s32 offset:144
	buffer_store_dword v0, off, s[0:3], s32 offset:140
	;; [unrolled: 1-line block ×3, first 2 shown]
	s_cbranch_vccnz .LBB13_283
.LBB13_274:                             ;   Parent Loop BB13_4 Depth=1
                                        ; =>  This Inner Loop Header: Depth=2
	v_mov_b32_e32 v0, s18
	buffer_store_dword v6, v0, s[0:3], 0 offen
	v_add_u32_e32 v6, -1, v6
	v_cmp_ne_u32_e32 vcc, 0, v6
	s_add_i32 s18, s18, 4
	buffer_store_dword v48, v0, s[0:3], 0 offen offset:128
	s_cbranch_vccnz .LBB13_274
; %bb.275:                              ;   in Loop: Header=BB13_4 Depth=1
	v_mov_b32_e32 v5, 0
	s_mov_b32 s27, 0
	s_mov_b32 s28, s34
	s_branch .LBB13_279
.LBB13_276:                             ;   in Loop: Header=BB13_279 Depth=2
	s_or_b64 exec, exec, s[22:23]
	v_add_u32_e32 v1, 1, v1
	v_mov_b32_e32 v2, s28
	buffer_store_dword v1, v2, s[0:3], 0 offen offset:128
.LBB13_277:                             ;   in Loop: Header=BB13_279 Depth=2
	s_or_b64 exec, exec, s[20:21]
	v_mov_b32_e32 v5, v0
.LBB13_278:                             ;   in Loop: Header=BB13_279 Depth=2
	s_or_b64 exec, exec, s[18:19]
	s_add_i32 s27, s27, 1
	v_cmp_ne_u32_e32 vcc, s27, v4
	s_add_i32 s28, s28, 4
	s_cbranch_vccz .LBB13_283
.LBB13_279:                             ;   Parent Loop BB13_4 Depth=1
                                        ; =>  This Inner Loop Header: Depth=2
	v_mov_b32_e32 v0, s28
	buffer_load_dword v1, v0, s[0:3], 0 offen
	s_waitcnt vmcnt(0)
	v_add_u32_e32 v1, -1, v1
	v_cmp_eq_u32_e32 vcc, 0, v1
	buffer_store_dword v1, v0, s[0:3], 0 offen
	s_and_saveexec_b64 s[18:19], vcc
	s_cbranch_execz .LBB13_278
; %bb.280:                              ;   in Loop: Header=BB13_279 Depth=2
	s_lshl_b32 s29, 1, s27
	v_xor_b32_e32 v0, s29, v5
	v_mov_b32_e32 v1, s29
	v_mov_b32_e32 v2, s28
	buffer_store_dword v0, off, s[0:3], s32 offset:148
	buffer_store_dword v1, v2, s[0:3], 0 offen
	v_and_b32_e32 v1, s29, v5
	v_cmp_ne_u32_e32 vcc, 0, v1
	s_and_saveexec_b64 s[20:21], vcc
	s_cbranch_execz .LBB13_277
; %bb.281:                              ;   in Loop: Header=BB13_279 Depth=2
	v_mov_b32_e32 v2, s28
	buffer_load_dword v1, v2, s[0:3], 0 offen offset:128
	s_waitcnt vmcnt(0)
	v_ffbl_b32_e32 v3, v1
	v_cmp_eq_u32_e32 vcc, 0, v1
	v_cndmask_b32_e32 v3, v3, v4, vcc
	v_add3_u32 v3, s29, -1, v3
	v_cmp_eq_u32_e32 vcc, 0, v3
	buffer_store_dword v3, v2, s[0:3], 0 offen
	s_and_saveexec_b64 s[22:23], vcc
	s_cbranch_execz .LBB13_276
; %bb.282:                              ;   in Loop: Header=BB13_279 Depth=2
	v_mov_b32_e32 v0, s29
	v_mov_b32_e32 v2, s28
	buffer_store_dword v5, off, s[0:3], s32 offset:148
	buffer_store_dword v0, v2, s[0:3], 0 offen
	v_mov_b32_e32 v0, v5
	s_branch .LBB13_276
.LBB13_283:                             ;   in Loop: Header=BB13_4 Depth=1
	s_andn2_b64 vcc, exec, s[16:17]
	buffer_store_dword v5, off, s[0:3], s32 offset:124
	buffer_store_dword v18, off, s[0:3], s32 offset:128
	s_cbranch_vccnz .LBB13_285
; %bb.284:                              ;   in Loop: Header=BB13_4 Depth=1
	s_lshl_b32 s16, s26, 1
	s_ashr_i32 s17, s26, 31
	s_add_i32 s16, s16, s17
	s_xor_b32 s16, s16, s17
	v_cvt_f32_u32_e32 v0, s16
	s_ashr_i32 s18, s24, 31
	s_xor_b32 s17, s18, s17
	s_sub_i32 s18, 0, s16
	v_rcp_iflag_f32_e32 v0, v0
	s_abs_i32 s19, s24
	v_mul_f32_e32 v0, 0x4f7ffffe, v0
	v_cvt_u32_f32_e32 v0, v0
	v_readfirstlane_b32 s20, v0
	s_mul_i32 s18, s18, s20
	s_mul_hi_u32 s18, s20, s18
	s_add_i32 s20, s20, s18
	s_mul_hi_u32 s18, s19, s20
	s_mul_i32 s20, s18, s16
	s_sub_i32 s19, s19, s20
	s_add_i32 s21, s18, 1
	s_sub_i32 s20, s19, s16
	s_cmp_ge_u32 s19, s16
	s_cselect_b32 s18, s21, s18
	s_cselect_b32 s19, s20, s19
	s_add_i32 s20, s18, 1
	s_cmp_ge_u32 s19, s16
	s_cselect_b32 s16, s20, s18
	s_xor_b32 s16, s16, s17
	s_sub_i32 s24, s16, s17
.LBB13_285:                             ;   in Loop: Header=BB13_4 Depth=1
	v_mov_b32_e32 v0, s24
	buffer_store_dword v0, off, s[0:3], s32 offset:112
	v_mov_b32_e32 v0, s25
	s_mov_b32 s60, 0
	s_mov_b64 s[24:25], 0
	ds_write_b32 v0, v0
	s_trap 2
	s_branch .LBB13_288
.LBB13_286:                             ;   in Loop: Header=BB13_288 Depth=2
	s_or_b64 exec, exec, s[16:17]
	s_andn2_b64 s[26:27], s[26:27], exec
.LBB13_287:                             ;   in Loop: Header=BB13_288 Depth=2
	s_or_b64 exec, exec, s[20:21]
	s_add_i32 s60, s60, 1
	s_and_b64 s[16:17], exec, s[26:27]
	v_cndmask_b32_e64 v0, 1, 3, s[18:19]
	s_or_b64 s[24:25], s[16:17], s[24:25]
	ds_write_b32 v0, v0 offset:36
	s_andn2_b64 exec, exec, s[24:25]
	s_cbranch_execz .LBB13_2
.LBB13_288:                             ;   Parent Loop BB13_4 Depth=1
                                        ; =>  This Loop Header: Depth=2
                                        ;       Child Loop BB13_289 Depth 3
                                        ;       Child Loop BB13_346 Depth 3
	;; [unrolled: 1-line block ×4, first 2 shown]
	s_trap 2
.LBB13_289:                             ;   Parent Loop BB13_4 Depth=1
                                        ;     Parent Loop BB13_288 Depth=2
                                        ; =>    This Inner Loop Header: Depth=3
	ds_read_b32 v0, v0 offset:36
	s_waitcnt lgkmcnt(0)
	v_cmp_ne_u32_e32 vcc, 0, v0
	s_cbranch_vccnz .LBB13_289
; %bb.290:                              ;   in Loop: Header=BB13_288 Depth=2
	buffer_load_dword v0, off, s[0:3], s32 offset:64
	buffer_load_dword v1, off, s[0:3], s32 offset:68
	;; [unrolled: 1-line block ×6, first 2 shown]
	s_mov_b64 s[18:19], -1
	s_waitcnt vmcnt(0)
	ds_write2_b32 v0, v4, v18 offset0:7 offset1:8
	ds_write_b64 v0, v[0:1] offset:40
	v_cmp_lt_i32_e32 vcc, v6, v7
	s_and_saveexec_b64 s[26:27], vcc
	s_cbranch_execz .LBB13_324
; %bb.291:                              ;   in Loop: Header=BB13_288 Depth=2
	v_cmp_lt_i32_e32 vcc, 0, v5
                                        ; implicit-def: $sgpr28_sgpr29
	s_and_saveexec_b64 s[16:17], vcc
	s_xor_b64 s[44:45], exec, s[16:17]
	s_cbranch_execz .LBB13_317
; %bb.292:                              ;   in Loop: Header=BB13_288 Depth=2
	v_cmp_lt_i32_e32 vcc, 1, v5
                                        ; implicit-def: $sgpr28_sgpr29
	s_and_saveexec_b64 s[16:17], vcc
	s_xor_b64 s[16:17], exec, s[16:17]
	s_cbranch_execz .LBB13_304
; %bb.293:                              ;   in Loop: Header=BB13_288 Depth=2
	v_cmp_eq_u32_e32 vcc, 2, v5
	s_mov_b64 s[28:29], 0
	s_and_saveexec_b64 s[18:19], vcc
	s_cbranch_execz .LBB13_303
; %bb.294:                              ;   in Loop: Header=BB13_288 Depth=2
	buffer_load_dword v8, off, s[0:3], s32 offset:108
	buffer_load_dword v2, off, s[0:3], s32 offset:132
	buffer_load_dword v3, off, s[0:3], s32 offset:136
	v_sub_u32_e32 v12, 0, v6
	v_max_i32_e32 v15, v6, v12
                                        ; implicit-def: $vgpr16
	s_waitcnt vmcnt(2)
	v_sub_u32_e32 v9, 0, v8
	v_max_i32_e32 v9, v8, v9
	v_cvt_f32_u32_e32 v10, v9
	v_sub_u32_e32 v11, 0, v9
	s_waitcnt vmcnt(0)
	v_mul_lo_u32 v14, v2, v3
	v_ashrrev_i32_e32 v13, 31, v8
	v_rcp_iflag_f32_e32 v10, v10
	v_mul_f32_e32 v10, 0x4f7ffffe, v10
	v_cvt_u32_f32_e32 v10, v10
	v_mul_lo_u32 v11, v11, v10
	v_mul_hi_u32 v11, v10, v11
	v_add_u32_e32 v12, v10, v11
	v_mul_hi_u32 v10, v15, v12
	v_ashrrev_i32_e32 v11, 31, v6
	v_xor_b32_e32 v3, v11, v13
	v_mul_lo_u32 v2, v10, v9
	v_add_u32_e32 v11, 1, v10
	v_sub_u32_e32 v2, v15, v2
	v_cmp_ge_u32_e32 vcc, v2, v9
	v_cndmask_b32_e32 v10, v10, v11, vcc
	v_sub_u32_e32 v11, v2, v9
	v_cndmask_b32_e32 v2, v2, v11, vcc
	v_add_u32_e32 v11, 1, v10
	v_cmp_ge_u32_e32 vcc, v2, v9
	v_cndmask_b32_e32 v2, v10, v11, vcc
	v_xor_b32_e32 v2, v2, v3
	v_sub_u32_e32 v2, v2, v3
	v_mul_lo_u32 v3, v2, v8
	v_lshlrev_b32_e32 v15, 1, v6
	v_or_b32_e32 v10, 1, v15
	v_mul_lo_u32 v10, v14, v10
	v_sub_u32_e32 v17, v6, v3
	v_add_u32_e32 v3, -1, v8
	v_cmp_ne_u32_e32 vcc, v17, v3
                                        ; implicit-def: $vgpr11
	s_and_saveexec_b64 s[20:21], vcc
	s_xor_b64 s[20:21], exec, s[20:21]
	s_cbranch_execz .LBB13_296
; %bb.295:                              ;   in Loop: Header=BB13_288 Depth=2
	buffer_load_dword v11, off, s[0:3], s32 offset:100
	v_lshl_add_u32 v3, v14, 1, v10
	s_waitcnt vmcnt(0)
	v_cmp_ge_i32_e32 vcc, v3, v11
	v_cndmask_b32_e64 v16, 0, 1, vcc
.LBB13_296:                             ;   in Loop: Header=BB13_288 Depth=2
	s_andn2_saveexec_b64 s[20:21], s[20:21]
	s_cbranch_execz .LBB13_298
; %bb.297:                              ;   in Loop: Header=BB13_288 Depth=2
	buffer_load_dword v11, off, s[0:3], s32 offset:100
	v_mov_b32_e32 v16, 1
.LBB13_298:                             ;   in Loop: Header=BB13_288 Depth=2
	s_or_b64 exec, exec, s[20:21]
	buffer_load_dword v3, off, s[0:3], s32 offset:104
	buffer_load_dword v19, off, s[0:3], s32 offset:96
	;; [unrolled: 1-line block ×4, first 2 shown]
	s_waitcnt vmcnt(4)
	v_sub_u32_e32 v22, 0, v11
	v_max_i32_e32 v22, v11, v22
	v_cvt_f32_u32_e32 v23, v22
	v_sub_u32_e32 v24, 0, v22
	v_ffbl_b32_e32 v25, v10
	v_cmp_eq_u32_e32 vcc, 0, v14
	v_rcp_iflag_f32_e32 v23, v23
	v_mul_lo_u32 v17, v17, v4
	ds_write2_b32 v0, v18, v16 offset0:5 offset1:6
	ds_write2_b32 v0, v17, v2 offset0:3 offset1:4
	v_mul_f32_e32 v23, 0x4f7ffffe, v23
	v_cvt_u32_f32_e32 v23, v23
	v_mul_lo_u32 v24, v24, v23
	v_mul_hi_u32 v24, v23, v24
	v_add_u32_e32 v23, v23, v24
	s_waitcnt vmcnt(3)
	v_cndmask_b32_e32 v3, v25, v3, vcc
	v_lshl_add_u32 v24, -1, v3, v10
	s_waitcnt vmcnt(2)
	v_add3_u32 v19, v24, v11, v19
	v_sub_u32_e32 v25, 0, v19
	v_max_i32_e32 v25, v19, v25
	v_mul_hi_u32 v23, v25, v23
	v_ashrrev_i32_e32 v19, 31, v19
	v_ffbl_b32_e32 v2, v24
	v_mul_lo_u32 v23, v23, v22
	v_sub_u32_e32 v23, v25, v23
	v_sub_u32_e32 v25, v23, v22
	v_cmp_ge_u32_e32 vcc, v23, v22
	v_cndmask_b32_e32 v23, v23, v25, vcc
	v_sub_u32_e32 v25, v23, v22
	v_cmp_ge_u32_e32 vcc, v23, v22
	v_cndmask_b32_e32 v22, v23, v25, vcc
	v_xor_b32_e32 v22, v22, v19
	v_sub_u32_e32 v19, v22, v19
	v_ashrrev_i32_e32 v22, 31, v19
	s_waitcnt vmcnt(1)
	v_mul_lo_u32 v23, v20, v19
	s_waitcnt vmcnt(0)
	v_mad_u64_u32 v[19:20], s[20:21], v21, v19, v[0:1]
	v_mul_lo_u32 v21, v21, v22
	v_cmp_ne_u32_e32 vcc, 0, v24
	v_add3_u32 v20, v23, v20, v21
	ds_write2_b64 v0, v[2:3], v[19:20] offset1:6
	s_and_saveexec_b64 s[20:21], vcc
	s_xor_b64 s[20:21], exec, s[20:21]
	s_cbranch_execz .LBB13_300
; %bb.299:                              ;   in Loop: Header=BB13_288 Depth=2
	v_mul_lo_u32 v3, v14, v15
	v_add_u32_e32 v2, 1, v2
	v_ashrrev_i32_e32 v2, v2, v3
	v_sub_u32_e32 v3, 0, v2
	v_max_i32_e32 v3, v2, v3
	v_mul_hi_u32 v12, v3, v12
	v_ashrrev_i32_e32 v15, 31, v2
	v_xor_b32_e32 v13, v15, v13
	v_mul_lo_u32 v14, v12, v9
	v_add_u32_e32 v15, 1, v12
	v_sub_u32_e32 v3, v3, v14
	v_cmp_ge_u32_e32 vcc, v3, v9
	v_sub_u32_e32 v14, v3, v9
	v_cndmask_b32_e32 v12, v12, v15, vcc
	v_cndmask_b32_e32 v3, v3, v14, vcc
	v_add_u32_e32 v14, 1, v12
	v_cmp_ge_u32_e32 vcc, v3, v9
	v_cndmask_b32_e32 v3, v12, v14, vcc
	v_xor_b32_e32 v3, v3, v13
	v_sub_u32_e32 v3, v3, v13
	v_mul_lo_u32 v8, v3, v8
	v_sub_u32_e32 v2, v2, v8
	v_mul_lo_u32 v2, v2, v4
	ds_write2_b32 v0, v2, v3 offset0:2 offset1:4
.LBB13_300:                             ;   in Loop: Header=BB13_288 Depth=2
	s_andn2_saveexec_b64 s[20:21], s[20:21]
; %bb.301:                              ;   in Loop: Header=BB13_288 Depth=2
	ds_write_b32 v0, v38 offset:8
; %bb.302:                              ;   in Loop: Header=BB13_288 Depth=2
	s_or_b64 exec, exec, s[20:21]
	v_cmp_ge_i32_e32 vcc, v10, v11
	s_and_b64 s[28:29], vcc, exec
.LBB13_303:                             ;   in Loop: Header=BB13_288 Depth=2
	s_or_b64 exec, exec, s[18:19]
                                        ; implicit-def: $vgpr4
.LBB13_304:                             ;   in Loop: Header=BB13_288 Depth=2
	s_andn2_saveexec_b64 s[46:47], s[16:17]
	s_cbranch_execz .LBB13_316
; %bb.305:                              ;   in Loop: Header=BB13_288 Depth=2
	buffer_load_dword v3, off, s[0:3], s32 offset:132
	buffer_load_dword v8, off, s[0:3], s32 offset:100
	;; [unrolled: 1-line block ×8, first 2 shown]
	v_sub_u32_e32 v13, 0, v6
	v_ashrrev_i32_e32 v15, 31, v6
	v_max_i32_e32 v22, v6, v13
	s_waitcnt vmcnt(7)
	v_mul_lo_u32 v14, v3, v6
	s_waitcnt vmcnt(6)
	v_sub_u32_e32 v17, 0, v8
	s_waitcnt vmcnt(5)
	v_sub_u32_e32 v20, 0, v9
	v_max_i32_e32 v23, v8, v17
	v_max_i32_e32 v17, v9, v20
	v_cvt_f32_u32_e32 v20, v23
	v_cvt_f32_u32_e32 v25, v17
	v_ashrrev_i32_e32 v13, 31, v9
	v_xor_b32_e32 v24, v15, v13
	s_waitcnt vmcnt(4)
	v_add_u32_e32 v15, v14, v10
	v_ffbl_b32_e32 v27, v15
	v_cmp_eq_u32_e32 vcc, 0, v15
	v_add_u32_e32 v28, v15, v3
	s_waitcnt vmcnt(3)
	v_cndmask_b32_e32 v3, v27, v19, vcc
	v_rcp_iflag_f32_e32 v19, v20
	v_rcp_iflag_f32_e32 v25, v25
	v_cmp_ge_i32_e64 s[16:17], v28, v8
	v_cmp_gt_i32_e32 vcc, v28, v8
	v_mul_f32_e32 v19, 0x4f7ffffe, v19
	v_mul_f32_e32 v25, 0x4f7ffffe, v25
	v_cvt_u32_f32_e32 v28, v19
	v_cvt_u32_f32_e32 v25, v25
	v_sub_u32_e32 v21, 0, v23
	v_sub_u32_e32 v26, 0, v17
	v_mul_lo_u32 v21, v21, v28
	v_mul_lo_u32 v26, v26, v25
	v_lshlrev_b32_e64 v20, v3, -1
	v_add_u32_e32 v19, v20, v15
	s_waitcnt vmcnt(2)
	v_add3_u32 v30, v2, v8, v19
	v_mul_hi_u32 v2, v28, v21
	v_mul_hi_u32 v21, v25, v26
	v_sub_u32_e32 v26, 0, v30
	v_max_i32_e32 v26, v30, v26
	v_add_u32_e32 v2, v28, v2
	v_add_u32_e32 v21, v25, v21
	v_mul_hi_u32 v28, v22, v21
	v_mul_hi_u32 v25, v26, v2
	v_ashrrev_i32_e32 v30, 31, v30
	v_add_u32_e32 v16, -1, v9
	v_mul_lo_u32 v31, v28, v17
	v_mul_lo_u32 v25, v25, v23
	v_add_u32_e32 v32, 1, v28
	v_cndmask_b32_e64 v27, 0, 1, vcc
	v_sub_u32_e32 v22, v22, v31
	v_sub_u32_e32 v25, v26, v25
	v_cmp_ge_u32_e64 s[20:21], v22, v17
	v_sub_u32_e32 v31, v22, v17
	v_sub_u32_e32 v26, v25, v23
	v_cndmask_b32_e64 v28, v28, v32, s[20:21]
	v_cmp_ge_u32_e64 s[22:23], v25, v23
	v_cndmask_b32_e64 v22, v22, v31, s[20:21]
	v_cndmask_b32_e64 v25, v25, v26, s[22:23]
	v_add_u32_e32 v26, 1, v28
	v_cmp_ge_u32_e64 s[20:21], v22, v17
	v_cndmask_b32_e64 v22, v28, v26, s[20:21]
	v_xor_b32_e32 v22, v22, v24
	v_sub_u32_e32 v31, v25, v23
	v_cmp_ge_u32_e64 s[20:21], v25, v23
	v_sub_u32_e32 v22, v22, v24
	v_cndmask_b32_e64 v23, v25, v31, s[20:21]
	v_mul_lo_u32 v25, v22, v9
	v_xor_b32_e32 v23, v23, v30
	v_sub_u32_e32 v23, v23, v30
	v_ashrrev_i32_e32 v26, 31, v23
	s_waitcnt vmcnt(1)
	v_mul_lo_u32 v12, v12, v23
	s_waitcnt vmcnt(0)
	v_mad_u64_u32 v[23:24], s[20:21], v11, v23, v[0:1]
	v_mul_lo_u32 v26, v11, v26
	v_sub_u32_e32 v25, v6, v25
	v_mul_lo_u32 v11, v25, v4
	v_cmp_eq_u32_e64 s[22:23], v25, v16
	v_cmp_eq_u32_e32 vcc, 0, v3
	v_cmp_ne_u32_e64 s[20:21], v25, v16
	s_or_b64 s[16:17], s[22:23], s[16:17]
	v_cndmask_b32_e64 v29, 0, 1, vcc
	v_add3_u32 v24, v12, v24, v26
	v_cndmask_b32_e64 v12, 0, 1, s[16:17]
	s_and_b64 s[16:17], vcc, s[20:21]
	v_cmp_ne_u32_e64 s[18:19], 0, v19
	v_ffbl_b32_e32 v2, v19
	v_cndmask_b32_e64 v25, v29, v27, s[16:17]
	ds_write_b64 v0, v[23:24] offset:48
	ds_write_b32 v0, v12 offset:24
	v_mov_b32_e32 v12, v11
	v_cndmask_b32_e64 v22, v22, 0, vcc
	v_and_b32_e32 v23, 1, v25
	ds_write2_b64 v0, v[2:3], v[11:12] offset1:1
	ds_write_b64 v0, v[22:23] offset:16
	s_and_saveexec_b64 s[16:17], s[18:19]
	s_xor_b64 s[20:21], exec, s[16:17]
	s_cbranch_execz .LBB13_311
; %bb.306:                              ;   in Loop: Header=BB13_288 Depth=2
	v_sub_u32_e32 v3, 0, v10
	v_cmp_eq_u32_e64 s[16:17], v20, v3
	s_and_saveexec_b64 s[22:23], s[16:17]
	s_cbranch_execz .LBB13_310
; %bb.307:                              ;   in Loop: Header=BB13_288 Depth=2
	v_add_u32_e32 v3, 1, v2
	v_ashrrev_i32_e32 v10, v3, v14
	v_sub_u32_e32 v3, 0, v10
	v_max_i32_e32 v3, v10, v3
	v_mul_hi_u32 v11, v3, v21
	v_ashrrev_i32_e32 v14, 31, v10
	v_xor_b32_e32 v13, v14, v13
	v_mul_lo_u32 v12, v11, v17
	v_add_u32_e32 v14, 1, v11
	v_sub_u32_e32 v3, v3, v12
	v_cmp_ge_u32_e64 s[16:17], v3, v17
	v_sub_u32_e32 v12, v3, v17
	v_cndmask_b32_e64 v11, v11, v14, s[16:17]
	v_cndmask_b32_e64 v3, v3, v12, s[16:17]
	v_add_u32_e32 v12, 1, v11
	v_cmp_ge_u32_e64 s[16:17], v3, v17
	v_cndmask_b32_e64 v3, v11, v12, s[16:17]
	v_xor_b32_e32 v3, v3, v13
	v_sub_u32_e32 v3, v3, v13
	v_mul_lo_u32 v9, v3, v9
	v_sub_u32_e32 v9, v10, v9
	v_mul_lo_u32 v11, v9, v4
	v_mov_b32_e32 v4, 0
	ds_write_b32 v0, v11 offset:8
	s_and_saveexec_b64 s[56:57], vcc
; %bb.308:                              ;   in Loop: Header=BB13_288 Depth=2
	v_lshlrev_b32_e32 v3, 1, v10
	v_add_lshl_u32 v2, v3, 3, v2
	v_cmp_eq_u32_e64 s[16:17], v9, v16
	v_cmp_ge_i32_e64 s[18:19], v2, v8
	s_or_b64 s[16:17], s[16:17], s[18:19]
	v_cndmask_b32_e64 v4, 0, 1, s[16:17]
	v_mov_b32_e32 v3, 0
; %bb.309:                              ;   in Loop: Header=BB13_288 Depth=2
	s_or_b64 exec, exec, s[56:57]
	ds_write_b64 v0, v[3:4] offset:16
.LBB13_310:                             ;   in Loop: Header=BB13_288 Depth=2
	s_or_b64 exec, exec, s[22:23]
.LBB13_311:                             ;   in Loop: Header=BB13_288 Depth=2
	s_andn2_saveexec_b64 s[16:17], s[20:21]
; %bb.312:                              ;   in Loop: Header=BB13_288 Depth=2
	ds_write2_b32 v0, v38, v18 offset0:2 offset1:5
; %bb.313:                              ;   in Loop: Header=BB13_288 Depth=2
	s_or_b64 exec, exec, s[16:17]
	v_cmp_ge_i32_e64 s[18:19], v15, v8
	v_cmp_lt_i32_e64 s[16:17], v19, v8
	s_and_b64 s[16:17], s[18:19], s[16:17]
	s_and_b64 s[20:21], vcc, s[16:17]
	s_and_saveexec_b64 s[16:17], s[20:21]
	s_cbranch_execz .LBB13_315
; %bb.314:                              ;   in Loop: Header=BB13_288 Depth=2
	s_andn2_b64 s[18:19], s[18:19], exec
	ds_write2_b32 v0, v38, v38 offset0:1 offset1:3
	ds_write_b32 v0, v18 offset:24
.LBB13_315:                             ;   in Loop: Header=BB13_288 Depth=2
	s_or_b64 exec, exec, s[16:17]
	s_andn2_b64 s[16:17], s[28:29], exec
	s_and_b64 s[18:19], s[18:19], exec
	s_or_b64 s[28:29], s[16:17], s[18:19]
.LBB13_316:                             ;   in Loop: Header=BB13_288 Depth=2
	s_or_b64 exec, exec, s[46:47]
                                        ; implicit-def: $vgpr4
.LBB13_317:                             ;   in Loop: Header=BB13_288 Depth=2
	s_andn2_saveexec_b64 s[16:17], s[44:45]
	s_cbranch_execz .LBB13_323
; %bb.318:                              ;   in Loop: Header=BB13_288 Depth=2
	v_cmp_eq_u32_e32 vcc, 0, v5
	s_mov_b64 s[20:21], 0
	s_and_saveexec_b64 s[18:19], vcc
	s_cbranch_execz .LBB13_322
; %bb.319:                              ;   in Loop: Header=BB13_288 Depth=2
	buffer_load_dword v8, off, s[0:3], s32 offset:100
	buffer_load_dword v12, off, s[0:3], s32 offset:108
	;; [unrolled: 1-line block ×7, first 2 shown]
	v_sub_u32_e32 v20, 0, v6
	v_max_i32_e32 v20, v6, v20
	v_ashrrev_i32_e32 v17, 31, v6
	v_mov_b32_e32 v19, v18
	ds_write_b32 v0, v18 offset:16
	s_waitcnt vmcnt(6)
	v_sub_u32_e32 v3, 0, v8
	s_waitcnt vmcnt(5)
	v_sub_u32_e32 v14, 0, v12
	v_max_i32_e32 v15, v8, v3
	v_max_i32_e32 v14, v12, v14
	v_cvt_f32_u32_e32 v3, v15
	v_cvt_f32_u32_e32 v16, v14
	v_sub_u32_e32 v22, 0, v14
	v_rcp_iflag_f32_e32 v21, v3
	v_rcp_iflag_f32_e32 v16, v16
	s_waitcnt vmcnt(3)
	v_mad_u64_u32 v[2:3], s[20:21], v9, v6, v[2:3]
	v_mul_f32_e32 v3, 0x4f7ffffe, v21
	v_mul_f32_e32 v16, 0x4f7ffffe, v16
	v_cvt_u32_f32_e32 v3, v3
	v_cvt_u32_f32_e32 v16, v16
	v_sub_u32_e32 v21, 0, v15
	s_waitcnt vmcnt(2)
	v_add_u32_e32 v23, v13, v2
	v_mul_lo_u32 v21, v21, v3
	v_mul_lo_u32 v22, v22, v16
	v_mul_hi_u32 v13, v3, v21
	v_mul_hi_u32 v21, v16, v22
	v_sub_u32_e32 v22, 0, v23
	v_max_i32_e32 v22, v23, v22
	v_add_u32_e32 v3, v3, v13
	v_add_u32_e32 v13, v16, v21
	v_mul_hi_u32 v3, v22, v3
	v_mul_hi_u32 v16, v20, v13
	v_add_u32_e32 v21, -1, v12
	v_ashrrev_i32_e32 v12, 31, v23
	v_mul_lo_u32 v3, v3, v15
	v_mul_lo_u32 v16, v16, v14
	v_mov_b32_e32 v13, v38
	v_sub_u32_e32 v3, v22, v3
	v_sub_u32_e32 v16, v20, v16
	;; [unrolled: 1-line block ×3, first 2 shown]
	v_cmp_ge_u32_e32 vcc, v3, v15
	v_sub_u32_e32 v22, v16, v14
	v_cndmask_b32_e32 v3, v3, v20, vcc
	v_cmp_ge_u32_e32 vcc, v16, v14
	v_cndmask_b32_e32 v16, v16, v22, vcc
	v_sub_u32_e32 v20, v3, v15
	v_cmp_ge_u32_e32 vcc, v3, v15
	v_cndmask_b32_e32 v3, v3, v20, vcc
	v_xor_b32_e32 v3, v3, v12
	v_sub_u32_e32 v22, v16, v14
	v_cmp_ge_u32_e32 vcc, v16, v14
	v_sub_u32_e32 v3, v3, v12
	v_cndmask_b32_e32 v14, v16, v22, vcc
	v_ashrrev_i32_e32 v12, 31, v3
	v_xor_b32_e32 v16, v14, v17
	s_waitcnt vmcnt(1)
	v_mul_lo_u32 v11, v11, v3
	s_waitcnt vmcnt(0)
	v_mad_u64_u32 v[14:15], s[20:21], v10, v3, v[0:1]
	v_mul_lo_u32 v3, v10, v12
	v_sub_u32_e32 v10, v16, v17
	v_mul_lo_u32 v12, v10, v4
	v_cmp_ne_u32_e32 vcc, v10, v21
	v_add3_u32 v15, v11, v15, v3
	ds_write2_b64 v0, v[18:19], v[14:15] offset0:5 offset1:6
	v_mov_b32_e32 v19, v38
	v_mov_b32_e32 v3, 1
	ds_write2_b64 v0, v[18:19], v[12:13] offset1:1
	s_and_saveexec_b64 s[20:21], vcc
; %bb.320:                              ;   in Loop: Header=BB13_288 Depth=2
	v_add_u32_e32 v3, v2, v9
	v_cmp_ge_i32_e32 vcc, v3, v8
	v_cndmask_b32_e64 v3, 0, 1, vcc
; %bb.321:                              ;   in Loop: Header=BB13_288 Depth=2
	s_or_b64 exec, exec, s[20:21]
	v_cmp_ge_i32_e32 vcc, v2, v8
	s_and_b64 s[20:21], vcc, exec
	ds_write2_b32 v0, v3, v18 offset0:5 offset1:6
.LBB13_322:                             ;   in Loop: Header=BB13_288 Depth=2
	s_or_b64 exec, exec, s[18:19]
	s_andn2_b64 s[18:19], s[28:29], exec
	s_and_b64 s[20:21], s[20:21], exec
	s_or_b64 s[28:29], s[18:19], s[20:21]
.LBB13_323:                             ;   in Loop: Header=BB13_288 Depth=2
	s_or_b64 exec, exec, s[16:17]
	s_orn2_b64 s[18:19], s[28:29], exec
.LBB13_324:                             ;   in Loop: Header=BB13_288 Depth=2
	s_or_b64 exec, exec, s[26:27]
	buffer_load_dword v2, off, s[0:3], s32 offset:116
	v_add_u32_e32 v3, 1, v6
	buffer_store_dword v3, off, s[0:3], s32 offset:128
                                        ; implicit-def: $sgpr26_sgpr27
	s_waitcnt vmcnt(1)
	v_max_i32_e32 v4, v7, v2
	v_cmp_le_i32_e32 vcc, v4, v3
	s_and_saveexec_b64 s[16:17], vcc
	s_xor_b64 s[20:21], exec, s[16:17]
	s_cbranch_execz .LBB13_376
; %bb.325:                              ;   in Loop: Header=BB13_288 Depth=2
	v_cmp_lt_i32_e32 vcc, 1, v5
                                        ; implicit-def: $vgpr2
	s_and_saveexec_b64 s[16:17], vcc
	s_xor_b64 s[16:17], exec, s[16:17]
	s_cbranch_execz .LBB13_329
; %bb.326:                              ;   in Loop: Header=BB13_288 Depth=2
	v_cmp_eq_u32_e32 vcc, 2, v5
	v_mov_b32_e32 v2, 1
	s_and_saveexec_b64 s[22:23], vcc
	s_cbranch_execz .LBB13_328
; %bb.327:                              ;   in Loop: Header=BB13_288 Depth=2
	buffer_load_dword v2, off, s[0:3], s32 offset:136
	s_waitcnt vmcnt(0)
	v_lshrrev_b32_e32 v3, 31, v2
	v_add_u32_e32 v4, 1, v2
	v_add_u32_e32 v2, v2, v3
	v_ashrrev_i32_e32 v2, 1, v2
	v_cmp_gt_u32_e32 vcc, 3, v4
	buffer_store_dword v2, off, s[0:3], s32 offset:136
	v_cndmask_b32_e64 v2, 2, 1, vcc
.LBB13_328:                             ;   in Loop: Header=BB13_288 Depth=2
	s_or_b64 exec, exec, s[22:23]
.LBB13_329:                             ;   in Loop: Header=BB13_288 Depth=2
	s_andn2_saveexec_b64 s[16:17], s[16:17]
	s_cbranch_execz .LBB13_333
; %bb.330:                              ;   in Loop: Header=BB13_288 Depth=2
	v_mov_b32_e32 v2, 1
	v_cmp_eq_u32_e32 vcc, 1, v5
	s_and_saveexec_b64 s[22:23], vcc
	s_cbranch_execz .LBB13_332
; %bb.331:                              ;   in Loop: Header=BB13_288 Depth=2
	buffer_load_dword v2, off, s[0:3], s32 offset:124
	s_waitcnt vmcnt(0)
	v_and_b32_e32 v2, 0x80000001, v2
	v_cmp_ne_u32_e32 vcc, 1, v2
	v_cndmask_b32_e64 v2, 0, 1, vcc
.LBB13_332:                             ;   in Loop: Header=BB13_288 Depth=2
	s_or_b64 exec, exec, s[22:23]
.LBB13_333:                             ;   in Loop: Header=BB13_288 Depth=2
	s_or_b64 exec, exec, s[16:17]
	v_cmp_eq_u32_e32 vcc, 0, v5
	v_cmp_ne_u32_e64 s[22:23], 0, v5
	s_mov_b64 s[16:17], -1
	buffer_store_dword v2, off, s[0:3], s32 offset:140
	s_and_saveexec_b64 s[26:27], s[22:23]
	s_cbranch_execnz .LBB13_338
; %bb.334:                              ;   in Loop: Header=BB13_288 Depth=2
	s_or_b64 exec, exec, s[26:27]
	s_and_saveexec_b64 s[26:27], s[16:17]
	s_cbranch_execnz .LBB13_341
.LBB13_335:                             ;   in Loop: Header=BB13_288 Depth=2
	s_or_b64 exec, exec, s[26:27]
	s_mov_b64 s[16:17], 0
	s_and_saveexec_b64 s[26:27], vcc
	s_cbranch_execnz .LBB13_352
.LBB13_336:                             ;   in Loop: Header=BB13_288 Depth=2
	s_or_b64 exec, exec, s[26:27]
	s_and_saveexec_b64 s[26:27], s[22:23]
	s_xor_b64 s[22:23], exec, s[26:27]
	s_cbranch_execnz .LBB13_353
.LBB13_337:                             ;   in Loop: Header=BB13_288 Depth=2
	s_or_b64 exec, exec, s[22:23]
	s_mov_b64 s[26:27], 0
	s_and_saveexec_b64 s[22:23], s[16:17]
	s_cbranch_execnz .LBB13_356
	s_branch .LBB13_375
.LBB13_338:                             ;   in Loop: Header=BB13_288 Depth=2
	v_cmp_eq_u32_e64 s[16:17], 1, v5
	s_mov_b64 s[44:45], 0
	s_and_saveexec_b64 s[28:29], s[16:17]
	s_cbranch_execz .LBB13_340
; %bb.339:                              ;   in Loop: Header=BB13_288 Depth=2
	buffer_load_dword v3, off, s[0:3], s32 offset:124
	s_waitcnt vmcnt(0)
	v_and_b32_e32 v3, 1, v3
	v_cmp_eq_u32_e64 s[16:17], 0, v3
	s_and_b64 s[44:45], s[16:17], exec
.LBB13_340:                             ;   in Loop: Header=BB13_288 Depth=2
	s_or_b64 exec, exec, s[28:29]
	s_orn2_b64 s[16:17], s[44:45], exec
	s_or_b64 exec, exec, s[26:27]
	s_and_saveexec_b64 s[26:27], s[16:17]
	s_cbranch_execz .LBB13_335
.LBB13_341:                             ;   in Loop: Header=BB13_288 Depth=2
	buffer_load_dword v3, off, s[0:3], s32 offset:144
	buffer_load_dword v4, off, s[0:3], s32 offset:148
	s_waitcnt vmcnt(1)
	v_cmp_lt_i32_e64 s[16:17], 0, v3
	s_and_saveexec_b64 s[28:29], s[16:17]
	s_cbranch_execz .LBB13_351
; %bb.342:                              ;   in Loop: Header=BB13_288 Depth=2
	s_mov_b32 s61, 0
	s_mov_b64 s[44:45], 0
	s_mov_b32 s62, s34
	s_branch .LBB13_346
.LBB13_343:                             ;   in Loop: Header=BB13_346 Depth=3
	s_or_b64 exec, exec, s[58:59]
	v_add_u32_e32 v4, 1, v6
	v_mov_b32_e32 v6, s62
	buffer_store_dword v4, v6, s[0:3], 0 offen offset:128
.LBB13_344:                             ;   in Loop: Header=BB13_346 Depth=3
	s_or_b64 exec, exec, s[56:57]
	v_mov_b32_e32 v4, v5
.LBB13_345:                             ;   in Loop: Header=BB13_346 Depth=3
	s_or_b64 exec, exec, s[46:47]
	s_add_i32 s61, s61, 1
	s_add_i32 s62, s62, 4
	v_cmp_eq_u32_e64 s[16:17], s61, v3
	s_or_b64 s[44:45], s[16:17], s[44:45]
	s_andn2_b64 exec, exec, s[44:45]
	s_cbranch_execz .LBB13_350
.LBB13_346:                             ;   Parent Loop BB13_4 Depth=1
                                        ;     Parent Loop BB13_288 Depth=2
                                        ; =>    This Inner Loop Header: Depth=3
	v_mov_b32_e32 v5, s62
	buffer_load_dword v6, v5, s[0:3], 0 offen
	s_waitcnt vmcnt(0)
	v_add_u32_e32 v6, -1, v6
	v_cmp_eq_u32_e64 s[16:17], 0, v6
	buffer_store_dword v6, v5, s[0:3], 0 offen
	s_and_saveexec_b64 s[46:47], s[16:17]
	s_cbranch_execz .LBB13_345
; %bb.347:                              ;   in Loop: Header=BB13_346 Depth=3
	s_lshl_b32 s63, 1, s61
	v_xor_b32_e32 v5, s63, v4
	v_mov_b32_e32 v6, s63
	v_mov_b32_e32 v7, s62
	buffer_store_dword v5, off, s[0:3], s32 offset:148
	buffer_store_dword v6, v7, s[0:3], 0 offen
	v_and_b32_e32 v6, s63, v4
	v_cmp_ne_u32_e64 s[16:17], 0, v6
	s_and_saveexec_b64 s[56:57], s[16:17]
	s_cbranch_execz .LBB13_344
; %bb.348:                              ;   in Loop: Header=BB13_346 Depth=3
	v_mov_b32_e32 v7, s62
	buffer_load_dword v6, v7, s[0:3], 0 offen offset:128
	s_waitcnt vmcnt(0)
	v_ffbl_b32_e32 v8, v6
	v_cmp_eq_u32_e64 s[16:17], 0, v6
	v_cndmask_b32_e64 v8, v8, v3, s[16:17]
	v_add3_u32 v8, s63, -1, v8
	v_cmp_eq_u32_e64 s[16:17], 0, v8
	buffer_store_dword v8, v7, s[0:3], 0 offen
	s_and_saveexec_b64 s[58:59], s[16:17]
	s_cbranch_execz .LBB13_343
; %bb.349:                              ;   in Loop: Header=BB13_346 Depth=3
	v_mov_b32_e32 v5, s63
	v_mov_b32_e32 v7, s62
	buffer_store_dword v4, off, s[0:3], s32 offset:148
	buffer_store_dword v5, v7, s[0:3], 0 offen
	v_mov_b32_e32 v5, v4
	s_branch .LBB13_343
.LBB13_350:                             ;   in Loop: Header=BB13_288 Depth=2
	s_or_b64 exec, exec, s[44:45]
.LBB13_351:                             ;   in Loop: Header=BB13_288 Depth=2
	s_or_b64 exec, exec, s[28:29]
	s_waitcnt vmcnt(0)
	buffer_store_dword v4, off, s[0:3], s32 offset:124
	s_or_b64 exec, exec, s[26:27]
	s_mov_b64 s[16:17], 0
	s_and_saveexec_b64 s[26:27], vcc
	s_cbranch_execz .LBB13_336
.LBB13_352:                             ;   in Loop: Header=BB13_288 Depth=2
	buffer_load_dword v3, off, s[0:3], s32 offset:132
	buffer_load_dword v4, off, s[0:3], s32 offset:124
	s_andn2_b64 s[22:23], s[22:23], exec
	s_mov_b64 s[16:17], exec
	s_waitcnt vmcnt(1)
	v_lshrrev_b32_e32 v5, 31, v3
	v_add_u32_e32 v3, v3, v5
	v_ashrrev_i32_e32 v3, 1, v3
	s_waitcnt vmcnt(0)
	v_cmp_ne_u32_e32 vcc, v4, v3
	s_and_b64 s[28:29], vcc, exec
	s_or_b64 s[22:23], s[22:23], s[28:29]
	s_or_b64 exec, exec, s[26:27]
	s_and_saveexec_b64 s[26:27], s[22:23]
	s_xor_b64 s[22:23], exec, s[26:27]
	s_cbranch_execz .LBB13_337
.LBB13_353:                             ;   in Loop: Header=BB13_288 Depth=2
	buffer_load_dword v3, off, s[0:3], s32 offset:120
	v_cmp_lt_u32_e32 vcc, 1, v2
	buffer_store_dword v18, off, s[0:3], s32 offset:128
	s_waitcnt vmcnt(1)
	buffer_store_dword v3, off, s[0:3], s32 offset:112
	s_and_saveexec_b64 s[26:27], vcc
	s_cbranch_execz .LBB13_355
; %bb.354:                              ;   in Loop: Header=BB13_288 Depth=2
	buffer_load_dword v2, off, s[0:3], s32 offset:136
	v_sub_u32_e32 v7, 0, v3
	v_max_i32_e32 v7, v3, v7
	s_waitcnt vmcnt(0)
	v_lshlrev_b32_e32 v2, 1, v2
	v_sub_u32_e32 v4, 0, v2
	v_max_i32_e32 v4, v2, v4
	v_cvt_f32_u32_e32 v5, v4
	v_sub_u32_e32 v6, 0, v4
	v_xor_b32_e32 v2, v3, v2
	v_ashrrev_i32_e32 v2, 31, v2
	v_rcp_iflag_f32_e32 v5, v5
	v_mul_f32_e32 v5, 0x4f7ffffe, v5
	v_cvt_u32_f32_e32 v5, v5
	v_mul_lo_u32 v6, v6, v5
	v_mul_hi_u32 v6, v5, v6
	v_add_u32_e32 v5, v5, v6
	v_mul_hi_u32 v5, v7, v5
	v_mul_lo_u32 v6, v5, v4
	v_add_u32_e32 v3, 1, v5
	v_sub_u32_e32 v6, v7, v6
	v_cmp_ge_u32_e32 vcc, v6, v4
	v_cndmask_b32_e32 v3, v5, v3, vcc
	v_sub_u32_e32 v5, v6, v4
	v_cndmask_b32_e32 v5, v6, v5, vcc
	v_add_u32_e32 v6, 1, v3
	v_cmp_ge_u32_e32 vcc, v5, v4
	v_cndmask_b32_e32 v3, v3, v6, vcc
	v_xor_b32_e32 v3, v3, v2
	v_sub_u32_e32 v2, v3, v2
	buffer_store_dword v2, off, s[0:3], s32 offset:112
.LBB13_355:                             ;   in Loop: Header=BB13_288 Depth=2
	s_or_b64 exec, exec, s[26:27]
	s_andn2_b64 s[16:17], s[16:17], exec
	s_or_b64 exec, exec, s[22:23]
	s_mov_b64 s[26:27], 0
	s_and_saveexec_b64 s[22:23], s[16:17]
	s_cbranch_execz .LBB13_375
.LBB13_356:                             ;   in Loop: Header=BB13_288 Depth=2
	buffer_load_dword v2, off, s[0:3], s32 offset:88
	buffer_load_dword v4, off, s[0:3], s32 offset:72
	;; [unrolled: 1-line block ×3, first 2 shown]
	s_waitcnt vmcnt(2)
	v_ashrrev_i32_e32 v3, 31, v2
	v_add_co_u32_e32 v0, vcc, v0, v2
	v_addc_co_u32_e32 v1, vcc, v1, v3, vcc
	s_waitcnt vmcnt(0)
	v_cmp_le_u64_e32 vcc, v[4:5], v[0:1]
	buffer_store_dword v1, off, s[0:3], s32 offset:68
	buffer_store_dword v0, off, s[0:3], s32 offset:64
	s_and_saveexec_b64 s[16:17], vcc
	s_xor_b64 s[16:17], exec, s[16:17]
; %bb.357:                              ;   in Loop: Header=BB13_288 Depth=2
	ds_write_b32 v0, v37 offset:32
                                        ; implicit-def: $vgpr4_vgpr5
                                        ; implicit-def: $vgpr0
                                        ; implicit-def: $vgpr2_vgpr3
; %bb.358:                              ;   in Loop: Header=BB13_288 Depth=2
	s_or_saveexec_b64 s[26:27], s[16:17]
	s_mov_b64 s[16:17], -1
	s_xor_b64 exec, exec, s[26:27]
	s_cbranch_execz .LBB13_374
; %bb.359:                              ;   in Loop: Header=BB13_288 Depth=2
	buffer_load_dword v6, off, s[0:3], s32 offset:120
	buffer_load_dword v7, off, s[0:3], s32 offset:144
	v_sub_co_u32_e32 v4, vcc, v4, v0
	v_subb_co_u32_e32 v5, vcc, v5, v1, vcc
	v_cmp_lt_i64_e32 vcc, v[2:3], v[4:5]
	v_mov_b32_e32 v1, 0
	v_cndmask_b32_e32 v0, v4, v2, vcc
	buffer_store_dword v1, off, s[0:3], s32 offset:148
	buffer_store_dword v0, off, s[0:3], s32 offset:92
	s_waitcnt vmcnt(3)
	v_lshrrev_b32_e32 v0, 31, v6
	v_add_u32_e32 v2, -2, v6
	v_add_u32_e32 v0, v6, v0
	v_cmp_gt_u32_e32 vcc, -3, v2
	v_cndmask_b32_e64 v2, 1, 2, vcc
	v_ashrrev_i32_e32 v0, 1, v0
	s_waitcnt vmcnt(2)
	v_cmp_lt_i32_e64 s[16:17], 0, v7
	buffer_store_dword v2, off, s[0:3], s32 offset:140
	buffer_store_dword v0, off, s[0:3], s32 offset:136
	s_and_saveexec_b64 s[28:29], s[16:17]
	s_cbranch_execz .LBB13_371
; %bb.360:                              ;   in Loop: Header=BB13_288 Depth=2
	s_mov_b64 s[44:45], 0
	v_mov_b32_e32 v1, v7
	s_mov_b32 s46, s34
.LBB13_361:                             ;   Parent Loop BB13_4 Depth=1
                                        ;     Parent Loop BB13_288 Depth=2
                                        ; =>    This Inner Loop Header: Depth=3
	v_mov_b32_e32 v2, s46
	buffer_store_dword v1, v2, s[0:3], 0 offen
	v_add_u32_e32 v1, -1, v1
	s_add_i32 s46, s46, 4
	v_cmp_eq_u32_e64 s[16:17], 0, v1
	s_or_b64 s[44:45], s[16:17], s[44:45]
	buffer_store_dword v48, v2, s[0:3], 0 offen offset:128
	s_andn2_b64 exec, exec, s[44:45]
	s_cbranch_execnz .LBB13_361
; %bb.362:                              ;   in Loop: Header=BB13_288 Depth=2
	s_or_b64 exec, exec, s[44:45]
	v_mov_b32_e32 v1, 0
	s_mov_b64 s[44:45], 0
	s_mov_b32 s61, 0
	s_mov_b32 s62, s34
	s_branch .LBB13_366
.LBB13_363:                             ;   in Loop: Header=BB13_366 Depth=3
	s_or_b64 exec, exec, s[58:59]
	v_add_u32_e32 v1, 1, v3
	v_mov_b32_e32 v3, s62
	buffer_store_dword v1, v3, s[0:3], 0 offen offset:128
.LBB13_364:                             ;   in Loop: Header=BB13_366 Depth=3
	s_or_b64 exec, exec, s[56:57]
	v_mov_b32_e32 v1, v2
.LBB13_365:                             ;   in Loop: Header=BB13_366 Depth=3
	s_or_b64 exec, exec, s[46:47]
	s_add_i32 s61, s61, 1
	s_add_i32 s62, s62, 4
	v_cmp_eq_u32_e64 s[16:17], s61, v7
	s_or_b64 s[44:45], s[16:17], s[44:45]
	s_andn2_b64 exec, exec, s[44:45]
	s_cbranch_execz .LBB13_370
.LBB13_366:                             ;   Parent Loop BB13_4 Depth=1
                                        ;     Parent Loop BB13_288 Depth=2
                                        ; =>    This Inner Loop Header: Depth=3
	v_mov_b32_e32 v2, s62
	buffer_load_dword v3, v2, s[0:3], 0 offen
	s_waitcnt vmcnt(0)
	v_add_u32_e32 v3, -1, v3
	v_cmp_eq_u32_e64 s[16:17], 0, v3
	buffer_store_dword v3, v2, s[0:3], 0 offen
	s_and_saveexec_b64 s[46:47], s[16:17]
	s_cbranch_execz .LBB13_365
; %bb.367:                              ;   in Loop: Header=BB13_366 Depth=3
	s_lshl_b32 s63, 1, s61
	v_xor_b32_e32 v2, s63, v1
	v_mov_b32_e32 v3, s63
	v_mov_b32_e32 v4, s62
	buffer_store_dword v2, off, s[0:3], s32 offset:148
	buffer_store_dword v3, v4, s[0:3], 0 offen
	v_and_b32_e32 v3, s63, v1
	v_cmp_ne_u32_e64 s[16:17], 0, v3
	s_and_saveexec_b64 s[56:57], s[16:17]
	s_cbranch_execz .LBB13_364
; %bb.368:                              ;   in Loop: Header=BB13_366 Depth=3
	v_mov_b32_e32 v4, s62
	buffer_load_dword v3, v4, s[0:3], 0 offen offset:128
	s_waitcnt vmcnt(0)
	v_ffbl_b32_e32 v5, v3
	v_cmp_eq_u32_e64 s[16:17], 0, v3
	v_cndmask_b32_e64 v5, v5, v7, s[16:17]
	v_add3_u32 v5, s63, -1, v5
	v_cmp_eq_u32_e64 s[16:17], 0, v5
	buffer_store_dword v5, v4, s[0:3], 0 offen
	s_and_saveexec_b64 s[58:59], s[16:17]
	s_cbranch_execz .LBB13_363
; %bb.369:                              ;   in Loop: Header=BB13_366 Depth=3
	v_mov_b32_e32 v2, s63
	v_mov_b32_e32 v4, s62
	buffer_store_dword v1, off, s[0:3], s32 offset:148
	buffer_store_dword v2, v4, s[0:3], 0 offen
	v_mov_b32_e32 v2, v1
	s_branch .LBB13_363
.LBB13_370:                             ;   in Loop: Header=BB13_288 Depth=2
	s_or_b64 exec, exec, s[44:45]
.LBB13_371:                             ;   in Loop: Header=BB13_288 Depth=2
	s_or_b64 exec, exec, s[28:29]
	buffer_store_dword v1, off, s[0:3], s32 offset:124
	buffer_store_dword v18, off, s[0:3], s32 offset:128
	s_and_saveexec_b64 s[16:17], vcc
	s_cbranch_execz .LBB13_373
; %bb.372:                              ;   in Loop: Header=BB13_288 Depth=2
	v_ashrrev_i32_e32 v1, 31, v0
	v_lshl_add_u32 v0, v0, 1, v1
	v_xor_b32_e32 v0, v0, v1
	v_cvt_f32_u32_e32 v2, v0
	v_sub_u32_e32 v3, 0, v0
	v_sub_u32_e32 v4, 0, v6
	v_max_i32_e32 v4, v6, v4
	v_rcp_iflag_f32_e32 v2, v2
	v_ashrrev_i32_e32 v5, 31, v6
	v_xor_b32_e32 v1, v5, v1
	v_mul_f32_e32 v2, 0x4f7ffffe, v2
	v_cvt_u32_f32_e32 v2, v2
	v_mul_lo_u32 v3, v3, v2
	v_mul_hi_u32 v3, v2, v3
	v_add_u32_e32 v2, v2, v3
	v_mul_hi_u32 v2, v4, v2
	v_mul_lo_u32 v3, v2, v0
	v_add_u32_e32 v5, 1, v2
	v_sub_u32_e32 v3, v4, v3
	v_cmp_ge_u32_e32 vcc, v3, v0
	v_sub_u32_e32 v4, v3, v0
	v_cndmask_b32_e32 v2, v2, v5, vcc
	v_cndmask_b32_e32 v3, v3, v4, vcc
	v_add_u32_e32 v4, 1, v2
	v_cmp_ge_u32_e32 vcc, v3, v0
	v_cndmask_b32_e32 v0, v2, v4, vcc
	v_xor_b32_e32 v0, v0, v1
	v_sub_u32_e32 v6, v0, v1
.LBB13_373:                             ;   in Loop: Header=BB13_288 Depth=2
	s_or_b64 exec, exec, s[16:17]
	s_xor_b64 s[16:17], exec, -1
	buffer_store_dword v6, off, s[0:3], s32 offset:112
.LBB13_374:                             ;   in Loop: Header=BB13_288 Depth=2
	s_or_b64 exec, exec, s[26:27]
	s_and_b64 s[26:27], s[16:17], exec
.LBB13_375:                             ;   in Loop: Header=BB13_288 Depth=2
	s_or_b64 exec, exec, s[22:23]
                                        ; implicit-def: $vgpr5
                                        ; implicit-def: $vgpr0_vgpr1
                                        ; implicit-def: $vgpr7
                                        ; implicit-def: $vgpr2
                                        ; implicit-def: $vgpr6
.LBB13_376:                             ;   in Loop: Header=BB13_288 Depth=2
	s_andn2_saveexec_b64 s[20:21], s[20:21]
	s_cbranch_execz .LBB13_287
; %bb.377:                              ;   in Loop: Header=BB13_288 Depth=2
	buffer_load_dword v3, off, s[0:3], s32 offset:124
	v_cmp_eq_u32_e32 vcc, 0, v5
	s_waitcnt vmcnt(0)
	v_cmp_eq_u32_e64 s[16:17], 1, v3
	s_and_b64 s[22:23], vcc, s[16:17]
	s_and_saveexec_b64 s[16:17], s[22:23]
	s_cbranch_execz .LBB13_286
; %bb.378:                              ;   in Loop: Header=BB13_288 Depth=2
	buffer_load_dword v5, off, s[0:3], s32 offset:88
	buffer_load_dword v3, off, s[0:3], s32 offset:72
	;; [unrolled: 1-line block ×3, first 2 shown]
	s_waitcnt vmcnt(2)
	v_ashrrev_i32_e32 v8, 31, v5
	v_add_co_u32_e32 v0, vcc, v0, v5
	v_addc_co_u32_e32 v1, vcc, v1, v8, vcc
	s_waitcnt vmcnt(0)
	v_cmp_ge_u64_e32 vcc, v[0:1], v[3:4]
	s_and_b64 exec, exec, vcc
	s_cbranch_execz .LBB13_286
; %bb.379:                              ;   in Loop: Header=BB13_288 Depth=2
	v_sub_u32_e32 v0, 0, v2
	v_max_i32_e32 v0, v2, v0
	v_cvt_f32_u32_e32 v1, v0
	v_sub_u32_e32 v2, 0, v0
	v_add_u32_e32 v3, -1, v7
	v_sub_u32_e32 v4, 1, v7
	v_rcp_iflag_f32_e32 v1, v1
	v_max_i32_e32 v4, v3, v4
	v_mul_f32_e32 v1, 0x4f7ffffe, v1
	v_cvt_u32_f32_e32 v1, v1
	v_mul_lo_u32 v2, v2, v1
	v_mul_hi_u32 v2, v1, v2
	v_add_u32_e32 v1, v1, v2
	v_mul_hi_u32 v1, v4, v1
	v_ashrrev_i32_e32 v2, 31, v3
	v_mul_lo_u32 v1, v1, v0
	v_sub_u32_e32 v1, v4, v1
	v_sub_u32_e32 v4, v1, v0
	v_cmp_ge_u32_e32 vcc, v1, v0
	v_cndmask_b32_e32 v1, v1, v4, vcc
	v_sub_u32_e32 v4, v1, v0
	v_cmp_ge_u32_e32 vcc, v1, v0
	v_cndmask_b32_e32 v0, v1, v4, vcc
	v_xor_b32_e32 v0, v0, v2
	v_sub_u32_e32 v0, v2, v0
	v_add_u32_e32 v0, v3, v0
	v_cmp_ge_i32_e32 vcc, v6, v0
	s_and_b64 exec, exec, vcc
	s_cbranch_execz .LBB13_286
; %bb.380:                              ;   in Loop: Header=BB13_288 Depth=2
	ds_write_b32 v0, v48 offset:32
	s_branch .LBB13_286
.LBB13_381:
	buffer_load_dword v62, off, s[0:3], s32 ; 4-byte Folded Reload
	buffer_load_dword v61, off, s[0:3], s32 offset:4 ; 4-byte Folded Reload
	buffer_load_dword v60, off, s[0:3], s32 offset:8 ; 4-byte Folded Reload
	;; [unrolled: 1-line block ×14, first 2 shown]
	v_readlane_b32 s30, v63, 22
	v_readlane_b32 s31, v63, 23
	v_readlane_b32 s71, v63, 21
	v_readlane_b32 s70, v63, 20
	v_readlane_b32 s69, v63, 19
	v_readlane_b32 s68, v63, 18
	v_readlane_b32 s67, v63, 17
	v_readlane_b32 s66, v63, 16
	v_readlane_b32 s65, v63, 15
	v_readlane_b32 s64, v63, 14
	v_readlane_b32 s55, v63, 13
	v_readlane_b32 s54, v63, 12
	v_readlane_b32 s53, v63, 11
	v_readlane_b32 s52, v63, 10
	v_readlane_b32 s51, v63, 9
	v_readlane_b32 s50, v63, 8
	v_readlane_b32 s49, v63, 7
	v_readlane_b32 s48, v63, 6
	v_readlane_b32 s39, v63, 5
	v_readlane_b32 s38, v63, 4
	v_readlane_b32 s37, v63, 3
	v_readlane_b32 s36, v63, 2
	v_readlane_b32 s35, v63, 1
	v_readlane_b32 s34, v63, 0
	s_or_saveexec_b64 s[4:5], -1
	buffer_load_dword v63, off, s[0:3], s32 offset:420 ; 4-byte Folded Reload
	s_mov_b64 exec, s[4:5]
	s_waitcnt vmcnt(0)
	s_setpc_b64 s[30:31]
.Lfunc_end13:
	.size	_Z45ncclDevFunc_AllGather_PAT_SIMPLE_Sum_i8_0_0_2v, .Lfunc_end13-_Z45ncclDevFunc_AllGather_PAT_SIMPLE_Sum_i8_0_0_2v
                                        ; -- End function
	.set .L_Z45ncclDevFunc_AllGather_PAT_SIMPLE_Sum_i8_0_0_2v.num_vgpr, 64
	.set .L_Z45ncclDevFunc_AllGather_PAT_SIMPLE_Sum_i8_0_0_2v.num_agpr, 0
	.set .L_Z45ncclDevFunc_AllGather_PAT_SIMPLE_Sum_i8_0_0_2v.numbered_sgpr, 96
	.set .L_Z45ncclDevFunc_AllGather_PAT_SIMPLE_Sum_i8_0_0_2v.num_named_barrier, 0
	.set .L_Z45ncclDevFunc_AllGather_PAT_SIMPLE_Sum_i8_0_0_2v.private_seg_size, 432
	.set .L_Z45ncclDevFunc_AllGather_PAT_SIMPLE_Sum_i8_0_0_2v.uses_vcc, 1
	.set .L_Z45ncclDevFunc_AllGather_PAT_SIMPLE_Sum_i8_0_0_2v.uses_flat_scratch, 0
	.set .L_Z45ncclDevFunc_AllGather_PAT_SIMPLE_Sum_i8_0_0_2v.has_dyn_sized_stack, 0
	.set .L_Z45ncclDevFunc_AllGather_PAT_SIMPLE_Sum_i8_0_0_2v.has_recursion, 0
	.set .L_Z45ncclDevFunc_AllGather_PAT_SIMPLE_Sum_i8_0_0_2v.has_indirect_call, 0
	.section	.AMDGPU.csdata,"",@progbits
; Function info:
; codeLenInByte = 15664
; TotalNumSgprs: 100
; NumVgprs: 64
; ScratchSize: 432
; MemoryBound: 0
	.text
	.p2align	2                               ; -- Begin function _ZN12_GLOBAL__N_17runRingIa7FuncSumIaE7ProtoLLLi0ELi4ELi0ELb0EEEviiP15ncclDevWorkColl
	.type	_ZN12_GLOBAL__N_17runRingIa7FuncSumIaE7ProtoLLLi0ELi4ELi0ELb0EEEviiP15ncclDevWorkColl,@function
_ZN12_GLOBAL__N_17runRingIa7FuncSumIaE7ProtoLLLi0ELi4ELi0ELb0EEEviiP15ncclDevWorkColl: ; @_ZN12_GLOBAL__N_17runRingIa7FuncSumIaE7ProtoLLLi0ELi4ELi0ELb0EEEviiP15ncclDevWorkColl
; %bb.0:
	s_waitcnt vmcnt(0) expcnt(0) lgkmcnt(0)
	buffer_store_dword v40, off, s[0:3], s32 offset:60 ; 4-byte Folded Spill
	buffer_store_dword v41, off, s[0:3], s32 offset:56 ; 4-byte Folded Spill
	;; [unrolled: 1-line block ×15, first 2 shown]
	buffer_store_dword v63, off, s[0:3], s32 ; 4-byte Folded Spill
	s_trap 2
	flat_load_dword v7, v[2:3]
	flat_load_dwordx4 v[26:29], v[2:3] offset:72
	flat_load_dwordx2 v[13:14], v[2:3] offset:88
	v_mov_b32_e32 v4, v0
	ds_read_b32 v0, v0
                                        ; implicit-def: $vgpr18_vgpr19
	s_waitcnt lgkmcnt(0)
	ds_read_b64 v[23:24], v0
	v_readfirstlane_b32 s90, v0
	s_waitcnt vmcnt(0)
	v_not_b32_sdwa v6, v7 dst_sel:DWORD dst_unused:UNUSED_PAD src0_sel:BYTE_0
	v_add_u32_sdwa v5, v7, v6 dst_sel:DWORD dst_unused:UNUSED_PAD src0_sel:BYTE_1 src1_sel:DWORD
	v_ashrrev_i32_e32 v8, 31, v5
	v_mul_lo_u32 v9, v29, v5
	v_mad_u64_u32 v[15:16], s[4:5], v28, v5, 0
	v_mul_lo_u32 v5, v28, v8
	v_cmp_ne_u32_sdwa s[4:5], v0, v7 src0_sel:DWORD src1_sel:BYTE_0
	v_add3_u32 v5, v16, v5, v9
                                        ; implicit-def: $vgpr8_vgpr9
                                        ; kill: killed $vgpr8_vgpr9
	s_and_saveexec_b64 s[6:7], s[4:5]
	s_xor_b64 s[4:5], exec, s[6:7]
	s_cbranch_execz .LBB14_6
; %bb.1:
	v_cmp_ne_u32_sdwa s[6:7], v0, v7 src0_sel:DWORD src1_sel:BYTE_1
                                        ; implicit-def: $vgpr18_vgpr19
                                        ; implicit-def: $vgpr7_vgpr8
                                        ; kill: killed $vgpr7_vgpr8
	s_and_saveexec_b64 s[10:11], s[6:7]
	s_xor_b64 s[6:7], exec, s[10:11]
	s_cbranch_execz .LBB14_3
; %bb.2:
	flat_load_dwordx2 v[7:8], v[2:3] offset:96
	v_add_u32_e32 v0, v0, v6
	v_ashrrev_i32_e32 v6, 31, v0
	v_mul_lo_u32 v6, v28, v6
	v_mul_lo_u32 v9, v29, v0
	v_mad_u64_u32 v[10:11], s[10:11], v28, v0, v[26:27]
	v_add3_u32 v11, v9, v11, v6
	buffer_store_dword v10, off, s[0:3], s32 offset:84 ; 4-byte Folded Spill
	s_nop 0
	buffer_store_dword v11, off, s[0:3], s32 offset:88 ; 4-byte Folded Spill
	s_waitcnt vmcnt(0) lgkmcnt(0)
	v_lshrrev_b64 v[18:19], 21, v[7:8]
.LBB14_3:
	s_andn2_saveexec_b64 s[6:7], s[6:7]
	s_cbranch_execz .LBB14_5
; %bb.4:
	flat_load_dword v0, v[2:3] offset:100
	v_add_co_u32_e32 v6, vcc, v15, v26
	v_mov_b32_e32 v29, v14
	v_addc_co_u32_e32 v7, vcc, v5, v27, vcc
	v_mov_b32_e32 v28, v13
	buffer_store_dword v6, off, s[0:3], s32 offset:84 ; 4-byte Folded Spill
	s_nop 0
	buffer_store_dword v7, off, s[0:3], s32 offset:88 ; 4-byte Folded Spill
	s_waitcnt vmcnt(0) lgkmcnt(0)
	v_lshrrev_b32_e32 v18, 10, v0
.LBB14_5:
	s_or_b64 exec, exec, s[6:7]
.LBB14_6:
	s_andn2_saveexec_b64 s[4:5], s[4:5]
	s_cbranch_execz .LBB14_8
; %bb.7:
	flat_load_dwordx2 v[18:19], v[2:3] offset:96
	v_mov_b32_e32 v6, 0
	v_mov_b32_e32 v29, v27
	;; [unrolled: 1-line block ×4, first 2 shown]
	buffer_store_dword v6, off, s[0:3], s32 offset:84 ; 4-byte Folded Spill
	s_nop 0
	buffer_store_dword v7, off, s[0:3], s32 offset:88 ; 4-byte Folded Spill
.LBB14_8:
	s_or_b64 exec, exec, s[4:5]
	flat_load_dwordx4 v[40:43], v[2:3] offset:16
	v_add_co_u32_e32 v0, vcc, v13, v26
	v_addc_co_u32_e32 v6, vcc, v14, v27, vcc
	v_add_co_u32_e32 v0, vcc, v0, v15
	v_addc_co_u32_e32 v27, vcc, v6, v5, vcc
	v_cmp_ge_i32_e32 vcc, v4, v1
	s_and_saveexec_b64 s[4:5], vcc
	s_xor_b64 s[6:7], exec, s[4:5]
	s_cbranch_execz .LBB14_33
; %bb.9:
	s_waitcnt lgkmcnt(0)
	flat_load_dword v2, v[23:24]
	s_waitcnt vmcnt(0) lgkmcnt(0)
	v_ashrrev_i32_e32 v5, 31, v2
	v_mul_lo_u32 v6, v27, v2
	v_mad_u64_u32 v[2:3], s[4:5], v0, v2, 0
	v_mul_lo_u32 v0, v0, v5
	v_add_co_u32_e32 v5, vcc, v40, v2
	v_add3_u32 v3, v3, v0, v6
	v_addc_co_u32_e32 v6, vcc, v41, v3, vcc
	v_cmp_ne_u64_e32 vcc, v[42:43], v[5:6]
	s_and_saveexec_b64 s[10:11], vcc
	s_cbranch_execz .LBB14_32
; %bb.10:
	buffer_load_dword v5, off, s[0:3], s32 offset:84 ; 4-byte Folded Reload
	buffer_load_dword v6, off, s[0:3], s32 offset:88 ; 4-byte Folded Reload
	v_sub_u32_e32 v12, v4, v1
	s_mov_b64 s[14:15], 0
	s_mov_b64 s[16:17], 0
	s_waitcnt vmcnt(1)
	v_add_co_u32_e32 v13, vcc, v42, v5
	s_waitcnt vmcnt(0)
	v_addc_co_u32_e32 v14, vcc, v43, v6, vcc
	v_add_co_u32_e32 v0, vcc, v40, v5
	v_addc_co_u32_e32 v5, vcc, v41, v6, vcc
	v_add_co_u32_e32 v15, vcc, v0, v2
	v_ashrrev_i16_e32 v0, 15, v12
	v_lshrrev_b16_e32 v0, 10, v0
	v_add_u16_e32 v1, v12, v0
	v_and_b32_e32 v0, 0xffffffc0, v1
	v_addc_co_u32_e32 v16, vcc, v5, v3, vcc
	v_sub_u16_e32 v0, v12, v0
	v_cmp_gt_i16_e32 vcc, 1, v0
	s_and_saveexec_b64 s[4:5], vcc
; %bb.11:
	v_or_b32_e32 v2, v13, v15
	v_and_b32_e32 v2, 15, v2
	v_cmp_ne_u32_e32 vcc, 0, v2
	s_and_b64 s[16:17], vcc, exec
; %bb.12:
	s_or_b64 exec, exec, s[4:5]
	v_ashrrev_i16_e32 v17, 6, v1
	v_cndmask_b32_e64 v1, 0, 1, s[16:17]
	v_cmp_ne_u32_e32 vcc, 0, v1
	s_cbranch_vccz .LBB14_14
; %bb.13:
	v_mov_b32_e32 v4, 0
	s_mov_b64 s[18:19], -1
	v_mov_b32_e32 v5, 0
	s_mov_b64 s[4:5], 0
                                        ; implicit-def: $vgpr2_vgpr3
                                        ; implicit-def: $vgpr0_vgpr1
                                        ; implicit-def: $vgpr18
	s_and_saveexec_b64 s[16:17], s[18:19]
	s_cbranch_execnz .LBB14_23
	s_branch .LBB14_26
.LBB14_14:
	v_bfe_i32 v18, v0, 0, 16
	v_ashrrev_i32_e32 v0, 31, v29
	v_lshrrev_b32_e32 v0, 19, v0
	v_add_co_u32_e32 v0, vcc, v28, v0
	v_addc_co_u32_e32 v1, vcc, 0, v29, vcc
	v_ashrrev_i64 v[9:10], 13, v[0:1]
	v_bfe_i32 v0, v17, 0, 16
	v_ashrrev_i32_e32 v1, 31, v0
	v_sub_co_u32_e32 v11, vcc, v9, v0
	v_subb_co_u32_e32 v12, vcc, v10, v1, vcc
	v_cmp_gt_i64_e32 vcc, 1, v[11:12]
	v_mov_b32_e32 v4, 0
	s_mov_b64 s[18:19], 0
	s_mov_b64 s[4:5], -1
	v_mov_b32_e32 v5, 0
                                        ; implicit-def: $vgpr2_vgpr3
                                        ; implicit-def: $vgpr0_vgpr1
                                        ; implicit-def: $vgpr12
	s_and_saveexec_b64 s[16:17], vcc
	s_cbranch_execz .LBB14_22
; %bb.15:
	v_lshlrev_b64 v[0:1], 13, v[9:10]
	v_mov_b32_e32 v4, 0
	v_cmp_ne_u64_e32 vcc, v[28:29], v[0:1]
	v_mov_b32_e32 v5, 0
	s_mov_b64 s[20:21], 0
                                        ; implicit-def: $vgpr2_vgpr3
                                        ; implicit-def: $vgpr9_vgpr10
                                        ; implicit-def: $vgpr12
	s_and_saveexec_b64 s[14:15], vcc
	s_cbranch_execz .LBB14_21
; %bb.16:
	v_sub_co_u32_e32 v6, vcc, v28, v0
	v_subb_co_u32_e32 v7, vcc, v29, v1, vcc
	v_ashrrev_i32_e32 v2, 31, v7
	v_lshrrev_b32_e32 v2, 22, v2
	v_add_co_u32_e32 v4, vcc, v6, v2
	v_addc_co_u32_e32 v5, vcc, 0, v7, vcc
	v_ashrrev_i64 v[8:9], 10, v[4:5]
	v_and_b32_e32 v2, 0xfffffc00, v4
	v_sub_co_u32_e32 v9, vcc, v6, v2
	v_subb_co_u32_e32 v10, vcc, v7, v5, vcc
	v_cmp_lt_i64_e32 vcc, 15, v[9:10]
	v_add_co_u32_e64 v4, s[4:5], v2, v0
	v_mov_b32_e32 v3, 0
	v_addc_co_u32_e64 v5, s[4:5], v5, v1, s[4:5]
	s_and_saveexec_b64 s[4:5], vcc
; %bb.17:
	v_add_co_u32_e32 v8, vcc, 1, v8
	v_and_b32_e32 v2, 15, v28
	v_sub_co_u32_e32 v9, vcc, v9, v2
	v_subbrev_co_u32_e32 v10, vcc, 0, v10, vcc
	v_add_co_u32_e32 v4, vcc, v9, v4
	v_addc_co_u32_e32 v5, vcc, v10, v5, vcc
	v_mov_b32_e32 v10, v3
	v_mov_b32_e32 v9, v2
; %bb.18:
	s_or_b64 exec, exec, s[4:5]
	v_lshlrev_b32_e32 v2, 6, v11
	v_sub_u32_e32 v2, v18, v2
	v_ashrrev_i32_e32 v3, 31, v2
	v_lshrrev_b32_e32 v3, 26, v3
	v_add_u32_e32 v3, v2, v3
	v_ashrrev_i32_e32 v11, 6, v3
	v_and_b32_e32 v3, 0xffffffc0, v3
	v_sub_u32_e32 v19, v2, v3
	v_lshlrev_b32_e32 v2, 4, v19
	v_lshl_add_u32 v2, v11, 10, v2
	v_ashrrev_i32_e32 v3, 31, v2
	v_sub_co_u32_e32 v6, vcc, v6, v2
	v_subb_co_u32_e32 v7, vcc, v7, v3, vcc
	v_cmp_gt_i64_e32 vcc, 16, v[6:7]
	s_mov_b64 s[4:5], 0
	s_mov_b64 s[18:19], -1
                                        ; implicit-def: $vgpr12
	s_and_saveexec_b64 s[20:21], vcc
; %bb.19:
	v_cmp_ne_u64_e32 vcc, 0, v[9:10]
	v_sub_u32_e32 v6, v11, v8
	v_lshl_add_u32 v12, v6, 6, v19
	s_xor_b64 s[18:19], exec, -1
	s_and_b64 s[4:5], vcc, exec
; %bb.20:
	s_or_b64 exec, exec, s[20:21]
	s_and_b64 s[20:21], s[18:19], exec
	s_and_b64 s[18:19], s[4:5], exec
.LBB14_21:
	s_or_b64 exec, exec, s[14:15]
	v_mov_b32_e32 v29, v10
	s_xor_b64 s[4:5], exec, -1
	s_and_b64 s[14:15], s[20:21], exec
	s_and_b64 s[18:19], s[18:19], exec
	v_mov_b32_e32 v28, v9
.LBB14_22:
	s_or_b64 exec, exec, s[16:17]
	s_and_saveexec_b64 s[16:17], s[18:19]
	s_cbranch_execz .LBB14_26
.LBB14_23:
	v_ashrrev_i32_e32 v7, 31, v29
	v_ashrrev_i32_e32 v6, 31, v12
	v_lshrrev_b32_e32 v7, 21, v7
	v_lshrrev_b32_e32 v6, 26, v6
	v_add_co_u32_e32 v7, vcc, v28, v7
	v_add_u32_e32 v6, v12, v6
	v_addc_co_u32_e32 v8, vcc, 0, v29, vcc
	v_ashrrev_i32_e32 v6, 6, v6
	v_ashrrev_i64 v[8:9], 11, v[7:8]
	v_ashrrev_i32_e32 v7, 31, v6
	v_cmp_gt_i64_e32 vcc, v[8:9], v[6:7]
	s_and_b64 exec, exec, vcc
	s_cbranch_execz .LBB14_26
; %bb.24:
	v_lshlrev_b32_e32 v7, 6, v6
	v_sub_u32_e32 v7, v12, v7
	v_lshl_add_u32 v6, v6, 11, v7
	v_ashrrev_i32_e32 v7, 31, v6
	v_add_co_u32_e32 v6, vcc, v4, v6
	v_addc_co_u32_e32 v7, vcc, v5, v7, vcc
	v_add_co_u32_e32 v4, vcc, v6, v15
	v_addc_co_u32_e32 v5, vcc, v7, v16, vcc
	;; [unrolled: 2-line block ×3, first 2 shown]
	s_and_b64 vcc, exec, -1
.LBB14_25:                              ; =>This Inner Loop Header: Depth=1
	flat_load_ubyte v8, v[6:7] glc slc
	flat_load_ubyte v9, v[6:7] offset:64 glc slc
	flat_load_ubyte v10, v[6:7] offset:128 glc slc
	;; [unrolled: 1-line block ×31, first 2 shown]
	s_waitcnt vmcnt(0) lgkmcnt(0)
	flat_store_byte v[4:5], v8 glc slc
	flat_store_byte v[4:5], v9 offset:64 glc slc
	flat_store_byte v[4:5], v10 offset:128 glc slc
	flat_store_byte v[4:5], v11 offset:192 glc slc
	flat_store_byte v[4:5], v12 offset:256 glc slc
	flat_store_byte v[4:5], v19 offset:320 glc slc
	flat_store_byte v[4:5], v20 offset:384 glc slc
	flat_store_byte v[4:5], v21 offset:448 glc slc
	flat_store_byte v[4:5], v22 offset:512 glc slc
	flat_store_byte v[4:5], v23 offset:576 glc slc
	flat_store_byte v[4:5], v24 offset:640 glc slc
	flat_store_byte v[4:5], v25 offset:704 glc slc
	flat_store_byte v[4:5], v26 offset:768 glc slc
	flat_store_byte v[4:5], v27 offset:832 glc slc
	flat_store_byte v[4:5], v28 offset:896 glc slc
	flat_store_byte v[4:5], v29 offset:960 glc slc
	flat_store_byte v[4:5], v30 offset:1024 glc slc
	flat_store_byte v[4:5], v31 offset:1088 glc slc
	flat_store_byte v[4:5], v32 offset:1152 glc slc
	flat_store_byte v[4:5], v33 offset:1216 glc slc
	flat_store_byte v[4:5], v34 offset:1280 glc slc
	flat_store_byte v[4:5], v35 offset:1344 glc slc
	flat_store_byte v[4:5], v36 offset:1408 glc slc
	flat_store_byte v[4:5], v37 offset:1472 glc slc
	flat_store_byte v[4:5], v38 offset:1536 glc slc
	flat_store_byte v[4:5], v39 offset:1600 glc slc
	flat_store_byte v[4:5], v48 offset:1664 glc slc
	flat_store_byte v[4:5], v49 offset:1728 glc slc
	flat_store_byte v[4:5], v50 offset:1792 glc slc
	flat_store_byte v[4:5], v51 offset:1856 glc slc
	flat_store_byte v[4:5], v52 offset:1920 glc slc
	flat_store_byte v[4:5], v53 offset:1984 glc slc
	s_mov_b64 vcc, vcc
	s_cbranch_vccnz .LBB14_25
.LBB14_26:
	s_or_b64 exec, exec, s[16:17]
	s_and_saveexec_b64 s[16:17], s[14:15]
	s_cbranch_execz .LBB14_29
; %bb.27:
	v_add_co_u32_e32 v2, vcc, v0, v2
	v_addc_co_u32_e32 v3, vcc, v1, v3, vcc
	v_add_co_u32_e32 v0, vcc, v2, v15
	v_addc_co_u32_e32 v1, vcc, v3, v16, vcc
	;; [unrolled: 2-line block ×3, first 2 shown]
	s_and_b64 vcc, exec, 0
.LBB14_28:                              ; =>This Inner Loop Header: Depth=1
	global_load_dwordx4 v[4:7], v[2:3], off glc slc
	s_waitcnt vmcnt(0)
	global_store_dwordx4 v[0:1], v[4:7], off glc slc
	s_mov_b64 vcc, vcc
	s_cbranch_vccz .LBB14_28
.LBB14_29:
	s_or_b64 exec, exec, s[16:17]
	s_and_saveexec_b64 s[14:15], s[4:5]
	s_xor_b64 s[14:15], exec, s[14:15]
	s_cbranch_execz .LBB14_32
; %bb.30:
	v_bfe_i32 v0, v17, 0, 16
	v_lshlrev_b32_e32 v1, 4, v18
	v_lshl_add_u32 v2, v0, 13, v1
	v_ashrrev_i32_e32 v3, 31, v2
	v_add_co_u32_e32 v0, vcc, v15, v2
	v_addc_co_u32_e32 v1, vcc, v16, v3, vcc
	v_add_co_u32_e32 v2, vcc, v13, v2
	v_addc_co_u32_e32 v3, vcc, v14, v3, vcc
	;; [unrolled: 2-line block ×5, first 2 shown]
	v_add_co_u32_e32 v10, vcc, 0x1c00, v2
	s_movk_i32 s4, 0x1000
	v_addc_co_u32_e32 v11, vcc, 0, v3, vcc
	v_add_co_u32_e32 v12, vcc, s4, v0
	v_addc_co_u32_e32 v13, vcc, 0, v1, vcc
	v_add_co_u32_e32 v14, vcc, 0x1400, v0
	;; [unrolled: 2-line block ×4, first 2 shown]
	v_addc_co_u32_e32 v19, vcc, 0, v1, vcc
	s_and_b64 vcc, exec, 0
.LBB14_31:                              ; =>This Inner Loop Header: Depth=1
	global_load_dwordx4 v[20:23], v[2:3], off glc slc
	global_load_dwordx4 v[24:27], v[2:3], off offset:1024 glc slc
	global_load_dwordx4 v[28:31], v[2:3], off offset:2048 glc slc
	;; [unrolled: 1-line block ×3, first 2 shown]
	global_load_dwordx4 v[36:39], v[4:5], off glc slc
	global_load_dwordx4 v[48:51], v[6:7], off glc slc
	;; [unrolled: 1-line block ×4, first 2 shown]
	s_waitcnt vmcnt(0)
	global_store_dwordx4 v[0:1], v[20:23], off glc slc
	global_store_dwordx4 v[0:1], v[24:27], off offset:1024 glc slc
	global_store_dwordx4 v[0:1], v[28:31], off offset:2048 glc slc
	;; [unrolled: 1-line block ×3, first 2 shown]
	global_store_dwordx4 v[12:13], v[36:39], off glc slc
	global_store_dwordx4 v[14:15], v[48:51], off glc slc
	;; [unrolled: 1-line block ×4, first 2 shown]
	s_mov_b64 vcc, vcc
	s_cbranch_vccz .LBB14_31
.LBB14_32:
	s_or_b64 exec, exec, s[10:11]
                                        ; implicit-def: $vgpr0_vgpr1
                                        ; implicit-def: $vgpr28_vgpr29
                                        ; kill: killed $vgpr0_vgpr1
                                        ; implicit-def: $vgpr18_vgpr19
                                        ; implicit-def: $vgpr4
                                        ; implicit-def: $vgpr23_vgpr24
                                        ; implicit-def: $vgpr40_vgpr41_vgpr42_vgpr43
                                        ; implicit-def: $vgpr31
                                        ; implicit-def: $vgpr2_vgpr3
                                        ; implicit-def: $vgpr27
                                        ; implicit-def: $vgpr1
                                        ; implicit-def: $vgpr0
.LBB14_33:
	s_andn2_saveexec_b64 s[20:21], s[6:7]
	s_cbranch_execz .LBB14_340
; %bb.34:
	flat_load_ushort v7, v[2:3] offset:8
	flat_load_dword v6, v[2:3] offset:4
	s_load_dword s4, s[8:9], 0x0
	v_mov_b32_e32 v20, 0
	v_ashrrev_i32_e32 v5, 31, v4
	v_mov_b32_e32 v10, 0
	s_mov_b32 s6, 0
	s_waitcnt lgkmcnt(0)
	s_cmp_lt_u32 s12, s4
	s_cselect_b32 s4, 12, 18
	s_add_u32 s4, s8, s4
	s_addc_u32 s5, s9, 0
	global_load_ushort v2, v20, s[4:5]
	v_mov_b32_e32 v11, 0
	s_waitcnt vmcnt(0)
	buffer_store_dword v2, off, s[0:3], s32 offset:160 ; 4-byte Folded Spill
	s_trap 2
	ds_read_b32 v19, v0
	v_lshrrev_b32_e32 v2, 26, v5
	v_add_u32_e32 v8, v4, v2
	v_lshrrev_b64 v[2:3], 31, v[6:7]
	v_and_b32_e32 v7, 3, v2
	v_and_b32_e32 v2, 0xffffffc0, v8
	v_sub_u32_e32 v6, v4, v2
	s_waitcnt lgkmcnt(0)
	v_cmp_gt_i32_e32 vcc, 0, v19
	v_cmp_eq_u32_e64 s[4:5], 0, v6
	s_cbranch_vccnz .LBB14_36
; %bb.35:
	s_trap 2
	ds_read_b64 v[2:3], v0
	v_lshlrev_b64 v[8:9], 3, v[19:20]
	s_movk_i32 s6, 0xa8
	s_waitcnt lgkmcnt(0)
	v_add_co_u32_e32 v2, vcc, v2, v8
	v_addc_co_u32_e32 v3, vcc, v3, v9, vcc
	flat_load_dwordx2 v[2:3], v[2:3]
	v_and_b32_e32 v8, 0xffff, v7
	s_waitcnt vmcnt(0) lgkmcnt(0)
	v_mad_u64_u32 v[2:3], s[6:7], v8, s6, v[2:3]
	flat_load_dwordx2 v[32:33], v[2:3] offset:504
	flat_load_dwordx2 v[34:35], v[2:3] offset:608
	v_add_co_u32_e32 v20, vcc, 0x1f8, v2
	v_addc_co_u32_e32 v21, vcc, 0, v3, vcc
	v_cndmask_b32_e64 v3, 0, v21, s[4:5]
	v_cndmask_b32_e64 v2, 0, v20, s[4:5]
	s_mov_b32 s6, 1
	s_branch .LBB14_37
.LBB14_36:
	v_mov_b32_e32 v20, 0
	v_mov_b32_e32 v2, 0
	v_mov_b32_e32 v21, 0
	v_mov_b32_e32 v3, 0
                                        ; implicit-def: $vgpr34_vgpr35
                                        ; implicit-def: $vgpr32_vgpr33
.LBB14_37:
	s_trap 2
	ds_read_b32 v13, v0
	s_waitcnt lgkmcnt(0)
	v_cmp_gt_i32_e32 vcc, 0, v13
	s_cbranch_vccnz .LBB14_39
; %bb.38:
	s_trap 2
	ds_read_b64 v[8:9], v0
	v_mov_b32_e32 v14, 0
	v_lshlrev_b64 v[10:11], 3, v[13:14]
	v_and_b32_e32 v7, 0xffff, v7
	s_movk_i32 s4, 0xa8
	s_waitcnt lgkmcnt(0)
	v_add_co_u32_e32 v8, vcc, v8, v10
	v_addc_co_u32_e32 v9, vcc, v9, v11, vcc
	flat_load_dwordx2 v[8:9], v[8:9]
	v_cmp_eq_u32_e32 vcc, 0, v6
	s_waitcnt vmcnt(0) lgkmcnt(0)
	v_mad_u64_u32 v[10:11], s[4:5], v7, s4, v[8:9]
	flat_load_dwordx2 v[36:37], v[10:11]
	flat_load_dwordx2 v[46:47], v[10:11] offset:104
	v_cndmask_b32_e32 v16, 0, v11, vcc
	v_cndmask_b32_e32 v15, 0, v10, vcc
	s_branch .LBB14_40
.LBB14_39:
	v_mov_b32_e32 v15, 0
	v_mov_b32_e32 v16, 0
                                        ; implicit-def: $vgpr46_vgpr47
                                        ; implicit-def: $vgpr36_vgpr37
.LBB14_40:
	v_subrev_u32_e32 v7, 64, v1
	v_cmp_ge_i32_e32 vcc, v4, v7
	v_cmp_gt_i32_e64 s[4:5], s6, v6
	v_mov_b32_e32 v13, 0
	v_mov_b32_e32 v48, 0
	v_mov_b32_e32 v14, 0
	v_mov_b32_e32 v49, 0
	s_and_b64 s[22:23], vcc, s[4:5]
                                        ; implicit-def: $vgpr38_vgpr39
	s_and_saveexec_b64 s[4:5], s[22:23]
	s_cbranch_execz .LBB14_42
; %bb.41:
	flat_load_dwordx2 v[48:49], v[2:3] offset:56
	flat_load_dwordx2 v[38:39], v[2:3] offset:104
.LBB14_42:
	s_or_b64 exec, exec, s[4:5]
	v_mov_b32_e32 v50, 0
	v_mov_b32_e32 v51, 0
	v_cmp_gt_i32_e64 s[4:5], s6, v4
                                        ; implicit-def: $vgpr52_vgpr53
	s_and_saveexec_b64 s[6:7], s[4:5]
	s_cbranch_execz .LBB14_44
; %bb.43:
	flat_load_dwordx2 v[50:51], v[15:16] offset:56
	s_waitcnt vmcnt(0) lgkmcnt(0)
	flat_load_dwordx2 v[52:53], v[50:51] glc
	s_waitcnt vmcnt(0)
	flat_load_dwordx4 v[13:16], v[15:16] offset:96
.LBB14_44:
	s_or_b64 exec, exec, s[6:7]
	v_mov_b32_e32 v2, 0
	v_cmp_ne_u64_e32 vcc, 0, v[28:29]
	v_mov_b32_e32 v3, 0
	s_and_saveexec_b64 s[24:25], vcc
	s_cbranch_execnz .LBB14_48
; %bb.45:
	s_or_b64 exec, exec, s[24:25]
	s_and_saveexec_b64 s[6:7], s[22:23]
	s_cbranch_execnz .LBB14_320
.LBB14_46:
	s_or_b64 exec, exec, s[6:7]
	s_and_saveexec_b64 s[6:7], s[4:5]
	s_cbranch_execnz .LBB14_321
.LBB14_47:
	s_or_b64 exec, exec, s[6:7]
	v_cmp_ne_u32_e32 vcc, 64, v1
	s_and_saveexec_b64 s[4:5], vcc
	s_cbranch_execnz .LBB14_322
	s_branch .LBB14_339
.LBB14_48:
	v_cvt_f64_u32_e32 v[2:3], 0
	v_lshlrev_b32_e32 v6, 4, v18
	v_and_b32_e32 v6, 0x1fffff0, v6
	buffer_store_dword v20, off, s[0:3], s32 offset:176 ; 4-byte Folded Spill
	s_nop 0
	buffer_store_dword v21, off, s[0:3], s32 offset:180 ; 4-byte Folded Spill
	buffer_store_dword v10, off, s[0:3], s32 offset:168 ; 4-byte Folded Spill
	s_nop 0
	buffer_store_dword v11, off, s[0:3], s32 offset:172 ; 4-byte Folded Spill
	v_ldexp_f64 v[2:3], v[2:3], 32
	buffer_store_dword v6, off, s[0:3], s32 offset:124 ; 4-byte Folded Spill
	v_cvt_f64_u32_e32 v[6:7], v6
	v_ashrrev_i32_e32 v8, 31, v19
	v_lshrrev_b32_e32 v8, 29, v8
	v_add_u32_e32 v8, v19, v8
	v_ashrrev_i32_e32 v54, 7, v8
	v_and_b32_e32 v9, 0x1fffff, v18
	v_add_f64 v[2:3], v[2:3], v[6:7]
	v_lshlrev_b32_e32 v6, 3, v4
	v_ashrrev_i32_e32 v8, 31, v6
	v_mov_b32_e32 v17, 0
	v_cmp_ne_u64_e64 s[6:7], 0, v[50:51]
	s_waitcnt vmcnt(0) lgkmcnt(0)
	v_cmp_ne_u64_e64 s[8:9], 0, v[13:14]
	s_cmp_lt_i32 s90, 3
	v_cmp_ne_u64_e64 s[14:15], 0, v[48:49]
	buffer_store_dword v2, off, s[0:3], s32 offset:128 ; 4-byte Folded Spill
	s_nop 0
	buffer_store_dword v3, off, s[0:3], s32 offset:132 ; 4-byte Folded Spill
	buffer_load_dword v2, off, s[0:3], s32 offset:160 ; 4-byte Folded Reload
	s_mov_b64 s[26:27], 0
	buffer_store_dword v31, off, s[0:3], s32 offset:164 ; 4-byte Folded Spill
	v_cmp_ne_u32_e64 s[10:11], 64, v1
	s_cselect_b64 s[40:41], -1, 0
	s_add_i32 s91, s90, -2
	s_mov_b64 s[42:43], 0x7ffffff8
	s_waitcnt vmcnt(1)
	v_cmp_ne_u32_sdwa s[28:29], v1, v2 src0_sel:DWORD src1_sel:WORD_0
	v_and_b32_e32 v2, 63, v31
	v_cmp_eq_u32_e64 s[12:13], 0, v2
	v_lshrrev_b32_e32 v2, 6, v1
	buffer_store_dword v2, off, s[0:3], s32 offset:68 ; 4-byte Folded Spill
	v_add_co_u32_e32 v2, vcc, v40, v6
	buffer_store_dword v2, off, s[0:3], s32 offset:144 ; 4-byte Folded Spill
	v_addc_co_u32_e32 v2, vcc, v41, v8, vcc
	buffer_store_dword v2, off, s[0:3], s32 offset:148 ; 4-byte Folded Spill
	buffer_load_dword v2, off, s[0:3], s32 offset:84 ; 4-byte Folded Reload
	s_nop 0
	buffer_load_dword v3, off, s[0:3], s32 offset:88 ; 4-byte Folded Reload
	v_lshlrev_b32_e32 v31, 3, v1
	buffer_store_dword v8, off, s[0:3], s32 offset:140 ; 4-byte Folded Spill
	s_waitcnt vmcnt(2)
	v_add_co_u32_e32 v7, vcc, v2, v6
	s_waitcnt vmcnt(1)
	v_addc_co_u32_e32 v8, vcc, v3, v8, vcc
	v_lshlrev_b64 v[2:3], 4, v[4:5]
	v_add_co_u32_e32 v2, vcc, v36, v2
	buffer_store_dword v2, off, s[0:3], s32 offset:152 ; 4-byte Folded Spill
	v_addc_co_u32_e32 v2, vcc, v37, v3, vcc
	v_add_co_u32_e32 v5, vcc, v7, v42
	buffer_store_dword v2, off, s[0:3], s32 offset:156 ; 4-byte Folded Spill
	v_addc_co_u32_e32 v6, vcc, v8, v43, vcc
	v_lshlrev_b32_e32 v2, 7, v9
	buffer_store_dword v2, off, s[0:3], s32 offset:136 ; 4-byte Folded Spill
	v_add_co_u32_e32 v2, vcc, v40, v7
	buffer_store_dword v2, off, s[0:3], s32 offset:76 ; 4-byte Folded Spill
	buffer_store_dword v40, off, s[0:3], s32 offset:108 ; 4-byte Folded Spill
	s_nop 0
	buffer_store_dword v41, off, s[0:3], s32 offset:112 ; 4-byte Folded Spill
	buffer_store_dword v42, off, s[0:3], s32 offset:116 ; 4-byte Folded Spill
	buffer_store_dword v43, off, s[0:3], s32 offset:120 ; 4-byte Folded Spill
	v_lshlrev_b32_e32 v3, 3, v5
	buffer_store_dword v3, off, s[0:3], s32 offset:72 ; 4-byte Folded Spill
	v_mov_b32_e32 v42, 0
	v_mov_b32_e32 v9, v28
	;; [unrolled: 1-line block ×4, first 2 shown]
	v_addc_co_u32_e32 v2, vcc, v41, v8, vcc
	buffer_store_dword v2, off, s[0:3], s32 offset:80 ; 4-byte Folded Spill
	v_mov_b32_e32 v2, v17
	v_lshlrev_b64 v[40:41], 4, v[1:2]
	v_mov_b32_e32 v2, 0
	v_mov_b32_e32 v3, 0
	;; [unrolled: 1-line block ×3, first 2 shown]
	buffer_store_dword v7, off, s[0:3], s32 offset:92 ; 4-byte Folded Spill
	s_nop 0
	buffer_store_dword v8, off, s[0:3], s32 offset:96 ; 4-byte Folded Spill
	buffer_store_dword v9, off, s[0:3], s32 offset:100 ; 4-byte Folded Spill
	;; [unrolled: 1-line block ×3, first 2 shown]
	s_branch .LBB14_50
.LBB14_49:                              ;   in Loop: Header=BB14_50 Depth=1
	s_or_b64 exec, exec, s[16:17]
	buffer_load_dword v7, off, s[0:3], s32 offset:124 ; 4-byte Folded Reload
	buffer_load_dword v9, off, s[0:3], s32 offset:136 ; 4-byte Folded Reload
	;; [unrolled: 1-line block ×3, first 2 shown]
	v_add_co_u32_e32 v34, vcc, 1, v34
	v_addc_co_u32_e32 v35, vcc, 0, v35, vcc
	s_waitcnt vmcnt(0)
	v_add_co_u32_e32 v42, vcc, v42, v7
	v_add_u32_e32 v10, v10, v9
	buffer_load_dword v9, off, s[0:3], s32 offset:76 ; 4-byte Folded Reload
	v_addc_co_u32_e32 v43, vcc, 0, v43, vcc
	v_add_co_u32_e32 v5, vcc, v5, v7
	v_addc_co_u32_e32 v6, vcc, 0, v6, vcc
	v_cmp_ge_u64_e32 vcc, v[42:43], v[28:29]
	buffer_store_dword v10, off, s[0:3], s32 offset:72 ; 4-byte Folded Spill
	s_or_b64 s[26:27], vcc, s[26:27]
	s_waitcnt vmcnt(0)
	v_add_co_u32_e32 v9, vcc, v9, v7
	buffer_load_dword v7, off, s[0:3], s32 offset:80 ; 4-byte Folded Reload
	s_waitcnt vmcnt(0)
	v_addc_co_u32_e32 v7, vcc, 0, v7, vcc
	buffer_store_dword v9, off, s[0:3], s32 offset:76 ; 4-byte Folded Spill
	buffer_store_dword v7, off, s[0:3], s32 offset:80 ; 4-byte Folded Spill
	s_andn2_b64 exec, exec, s[26:27]
	s_cbranch_execz .LBB14_319
.LBB14_50:                              ; =>This Loop Header: Depth=1
                                        ;     Child Loop BB14_56 Depth 2
                                        ;     Child Loop BB14_75 Depth 2
	;; [unrolled: 1-line block ×9, first 2 shown]
                                        ;       Child Loop BB14_173 Depth 3
                                        ;       Child Loop BB14_192 Depth 3
	;; [unrolled: 1-line block ×3, first 2 shown]
                                        ;         Child Loop BB14_218 Depth 4
                                        ;       Child Loop BB14_252 Depth 3
                                        ;       Child Loop BB14_209 Depth 3
                                        ;     Child Loop BB14_267 Depth 2
                                        ;       Child Loop BB14_271 Depth 3
                                        ;     Child Loop BB14_307 Depth 2
	v_sub_co_u32_e32 v7, vcc, v28, v42
	v_subb_co_u32_e32 v9, vcc, v29, v43, vcc
	v_cvt_f64_u32_e32 v[9:10], v9
	v_cvt_f64_u32_e32 v[11:12], v7
	v_ldexp_f64 v[9:10], v[9:10], 32
	v_add_f64 v[9:10], v[9:10], v[11:12]
	buffer_load_dword v11, off, s[0:3], s32 offset:128 ; 4-byte Folded Reload
	buffer_load_dword v12, off, s[0:3], s32 offset:132 ; 4-byte Folded Reload
	s_waitcnt vmcnt(0)
	v_max_f64 v[11:12], v[11:12], v[11:12]
	v_min_f64 v[9:10], v[11:12], v[9:10]
	v_cvt_i32_f64_e32 v7, v[9:10]
	buffer_load_dword v10, off, s[0:3], s32 offset:84 ; 4-byte Folded Reload
	buffer_load_dword v11, off, s[0:3], s32 offset:88 ; 4-byte Folded Reload
	flat_load_dword v9, v[23:24]
	buffer_load_dword v55, off, s[0:3], s32 offset:108 ; 4-byte Folded Reload
	buffer_load_dword v56, off, s[0:3], s32 offset:112 ; 4-byte Folded Reload
	;; [unrolled: 1-line block ×4, first 2 shown]
	v_max_i32_e32 v63, 0, v7
	v_add_u32_e32 v7, 7, v63
	s_waitcnt vmcnt(0)
	v_add_co_u32_e32 v10, vcc, v42, v10
	s_waitcnt lgkmcnt(0)
	v_ashrrev_i32_e32 v12, 31, v9
	v_mul_lo_u32 v18, v27, v9
	v_mul_lo_u32 v12, v0, v12
	v_mad_u64_u32 v[20:21], s[16:17], v0, v9, 0
	v_addc_co_u32_e32 v11, vcc, v43, v11, vcc
	v_add3_u32 v21, v21, v12, v18
	v_add_co_u32_e32 v18, vcc, v57, v10
	v_addc_co_u32_e32 v19, vcc, v58, v11, vcc
	v_add_co_u32_e32 v44, vcc, v55, v10
	v_addc_co_u32_e32 v45, vcc, v56, v11, vcc
	v_add_co_u32_e32 v25, vcc, v44, v20
	v_ashrrev_i32_e32 v9, 31, v7
	v_addc_co_u32_e32 v26, vcc, v45, v21, vcc
	v_lshrrev_b32_e32 v9, 29, v9
	v_cmp_ne_u64_e32 vcc, v[18:19], v[25:26]
	v_add_u32_e32 v7, v7, v9
	v_ashrrev_i32_e32 v7, 3, v7
	buffer_store_dword v7, off, s[0:3], s32 offset:64 ; 4-byte Folded Spill
	s_and_saveexec_b64 s[16:17], vcc
	s_xor_b64 s[18:19], exec, s[16:17]
	s_cbranch_execz .LBB14_116
; %bb.51:                               ;   in Loop: Header=BB14_50 Depth=1
	s_and_saveexec_b64 s[44:45], s[6:7]
	s_cbranch_execz .LBB14_67
; %bb.52:                               ;   in Loop: Header=BB14_50 Depth=1
	v_add_co_u32_e32 v18, vcc, 1, v15
	v_addc_co_u32_e32 v19, vcc, 0, v16, vcc
	v_add_co_u32_e32 v25, vcc, 8, v52
	v_addc_co_u32_e32 v26, vcc, 0, v53, vcc
	v_cmp_lt_u64_e32 vcc, v[25:26], v[18:19]
	s_and_saveexec_b64 s[46:47], vcc
	s_cbranch_execz .LBB14_64
; %bb.53:                               ;   in Loop: Header=BB14_50 Depth=1
	s_mov_b32 s92, 0
	v_cmp_eq_u32_e32 vcc, 0, v8
	s_mov_b64 s[56:57], 0
                                        ; implicit-def: $sgpr58_sgpr59
                                        ; implicit-def: $sgpr60_sgpr61
                                        ; implicit-def: $sgpr62_sgpr63
	s_branch .LBB14_56
.LBB14_54:                              ;   in Loop: Header=BB14_56 Depth=2
	s_or_b64 exec, exec, s[88:89]
	s_andn2_b64 s[16:17], s[62:63], exec
	s_and_b64 s[62:63], s[76:77], exec
	s_or_b64 s[62:63], s[16:17], s[62:63]
	s_andn2_b64 s[16:17], s[60:61], exec
	s_and_b64 s[60:61], s[74:75], exec
	v_mov_b32_e32 v12, 0
	s_or_b64 s[60:61], s[16:17], s[60:61]
.LBB14_55:                              ;   in Loop: Header=BB14_56 Depth=2
	s_or_b64 exec, exec, s[72:73]
	s_and_b64 s[16:17], exec, s[60:61]
	s_or_b64 s[56:57], s[16:17], s[56:57]
	s_andn2_b64 s[16:17], s[58:59], exec
	s_and_b64 s[58:59], s[62:63], exec
	s_or_b64 s[58:59], s[16:17], s[58:59]
	s_andn2_b64 exec, exec, s[56:57]
	s_cbranch_execz .LBB14_61
.LBB14_56:                              ;   Parent Loop BB14_50 Depth=1
                                        ; =>  This Inner Loop Header: Depth=2
	s_sleep 1
	s_waitcnt vmcnt(0) lgkmcnt(0)
	flat_load_dwordx2 v[52:53], v[50:51] glc
	s_or_b64 s[62:63], s[62:63], exec
	s_or_b64 s[60:61], s[60:61], exec
	v_mov_b32_e32 v12, v8
                                        ; implicit-def: $vgpr7
	s_and_saveexec_b64 s[72:73], vcc
	s_cbranch_execz .LBB14_55
; %bb.57:                               ;   in Loop: Header=BB14_56 Depth=2
	s_add_i32 s92, s92, 1
	s_cmpk_lg_i32 s92, 0x2710
	s_cselect_b64 s[78:79], -1, 0
	s_cmpk_eq_i32 s92, 0x2710
	s_mov_b64 s[74:75], -1
	s_mov_b64 s[76:77], -1
                                        ; implicit-def: $vgpr7
	s_cbranch_scc1 .LBB14_59
; %bb.58:                               ;   in Loop: Header=BB14_56 Depth=2
	s_and_saveexec_b64 s[88:89], s[78:79]
	s_cbranch_execz .LBB14_54
	s_branch .LBB14_60
.LBB14_59:                              ;   in Loop: Header=BB14_56 Depth=2
	s_trap 2
	ds_read_b64 v[25:26], v0
	s_andn2_b64 s[78:79], s[78:79], exec
	s_mov_b32 s92, 0
	s_mov_b64 s[76:77], 0
	s_waitcnt vmcnt(0) lgkmcnt(0)
	flat_load_dword v7, v[25:26] glc
	s_waitcnt vmcnt(0) lgkmcnt(0)
	buffer_wbinvl1_vol
	v_cmp_eq_u32_e64 s[16:17], 0, v7
	s_and_b64 s[16:17], s[16:17], exec
	s_or_b64 s[78:79], s[78:79], s[16:17]
	s_and_saveexec_b64 s[88:89], s[78:79]
	s_cbranch_execz .LBB14_54
.LBB14_60:                              ;   in Loop: Header=BB14_56 Depth=2
	s_waitcnt vmcnt(0) lgkmcnt(0)
	v_add_co_u32_e64 v25, s[16:17], 8, v52
	v_addc_co_u32_e64 v26, s[16:17], 0, v53, s[16:17]
	v_cmp_ge_u64_e64 s[16:17], v[25:26], v[18:19]
	s_or_b64 s[76:77], s[76:77], exec
	s_orn2_b64 s[74:75], s[16:17], exec
	s_branch .LBB14_54
.LBB14_61:                              ;   in Loop: Header=BB14_50 Depth=1
	s_or_b64 exec, exec, s[56:57]
	s_xor_b64 s[16:17], s[58:59], -1
	s_and_saveexec_b64 s[56:57], s[16:17]
	s_xor_b64 s[16:17], exec, s[56:57]
	s_cbranch_execz .LBB14_63
; %bb.62:                               ;   in Loop: Header=BB14_50 Depth=1
	v_mov_b32_e32 v12, 1
	s_waitcnt lgkmcnt(0)
	ds_write_b32 v0, v7
	s_trap 2
.LBB14_63:                              ;   in Loop: Header=BB14_50 Depth=1
	s_or_b64 exec, exec, s[16:17]
	v_mov_b32_e32 v8, v12
.LBB14_64:                              ;   in Loop: Header=BB14_50 Depth=1
	s_or_b64 exec, exec, s[46:47]
	s_and_saveexec_b64 s[16:17], s[8:9]
	s_cbranch_execz .LBB14_66
; %bb.65:                               ;   in Loop: Header=BB14_50 Depth=1
	v_and_b32_e32 v7, 7, v15
	v_and_b32_e32 v25, 0x7ffffff8, v15
	v_mad_u64_u32 v[15:16], s[46:47], v7, 24, v[13:14]
	buffer_load_dword v7, off, s[0:3], s32 offset:64 ; 4-byte Folded Reload
	v_mov_b32_e32 v26, v17
	v_cmp_eq_u64_e32 vcc, s[42:43], v[25:26]
	s_waitcnt vmcnt(0)
	v_cndmask_b32_e32 v7, v7, v54, vcc
	v_lshlrev_b32_e32 v25, 4, v7
	v_ashrrev_i32_e32 v26, 31, v25
	flat_store_dwordx2 v[15:16], v[25:26] offset:8
	s_waitcnt vmcnt(0)
.LBB14_66:                              ;   in Loop: Header=BB14_50 Depth=1
	s_or_b64 exec, exec, s[16:17]
	v_mov_b32_e32 v15, v18
	v_mov_b32_e32 v16, v19
.LBB14_67:                              ;   in Loop: Header=BB14_50 Depth=1
	s_or_b64 exec, exec, s[44:45]
	s_and_saveexec_b64 s[16:17], s[10:11]
	s_cbranch_execz .LBB14_86
; %bb.68:                               ;   in Loop: Header=BB14_50 Depth=1
	s_and_saveexec_b64 s[44:45], s[28:29]
	s_xor_b64 s[44:45], exec, s[44:45]
	s_cbranch_execz .LBB14_83
; %bb.69:                               ;   in Loop: Header=BB14_50 Depth=1
	s_and_saveexec_b64 s[46:47], s[12:13]
	s_cbranch_execz .LBB14_82
; %bb.70:                               ;   in Loop: Header=BB14_50 Depth=1
	s_mov_b64 s[58:59], exec
	v_mbcnt_lo_u32_b32 v7, s58, 0
	v_mbcnt_hi_u32_b32 v7, s59, v7
	v_cmp_eq_u32_e32 vcc, 0, v7
	s_waitcnt vmcnt(0) lgkmcnt(0)
	buffer_wbinvl1_vol
	s_and_saveexec_b64 s[56:57], vcc
	s_cbranch_execz .LBB14_72
; %bb.71:                               ;   in Loop: Header=BB14_50 Depth=1
	s_bcnt1_i32_b64 s58, s[58:59]
	v_mov_b32_e32 v18, s58
	v_mov_b32_e32 v19, v17
	ds_add_u64 v0, v[18:19]
	s_trap 2
.LBB14_72:                              ;   in Loop: Header=BB14_50 Depth=1
	s_or_b64 exec, exec, s[56:57]
	s_trap 2
	ds_read_b64 v[18:19], v0
	s_waitcnt lgkmcnt(0)
	buffer_load_dword v7, off, s[0:3], s32 offset:68 ; 4-byte Folded Reload
	s_waitcnt vmcnt(0)
	v_add_co_u32_e32 v2, vcc, v2, v7
	v_addc_co_u32_e32 v3, vcc, 0, v3, vcc
	v_cmp_lt_u64_e32 vcc, v[18:19], v[2:3]
	s_and_saveexec_b64 s[56:57], vcc
	s_cbranch_execz .LBB14_81
; %bb.73:                               ;   in Loop: Header=BB14_50 Depth=1
	s_mov_b32 s78, 0
	s_mov_b64 s[58:59], 0
                                        ; implicit-def: $sgpr60_sgpr61
                                        ; implicit-def: $sgpr62_sgpr63
	s_branch .LBB14_75
.LBB14_74:                              ;   in Loop: Header=BB14_75 Depth=2
	s_or_b64 exec, exec, s[74:75]
	s_and_b64 s[72:73], exec, s[76:77]
	s_or_b64 s[58:59], s[72:73], s[58:59]
	s_andn2_b64 s[60:61], s[60:61], exec
	s_and_b64 s[72:73], s[62:63], exec
	s_or_b64 s[60:61], s[60:61], s[72:73]
	s_andn2_b64 exec, exec, s[58:59]
	s_cbranch_execz .LBB14_79
.LBB14_75:                              ;   Parent Loop BB14_50 Depth=1
                                        ; =>  This Inner Loop Header: Depth=2
	s_add_i32 s78, s78, 1
	s_cmpk_lg_i32 s78, 0x2710
	s_cselect_b64 s[72:73], -1, 0
	s_and_b64 vcc, exec, s[72:73]
	s_cbranch_vccz .LBB14_77
; %bb.76:                               ;   in Loop: Header=BB14_75 Depth=2
	s_mov_b64 s[76:77], -1
	s_or_b64 s[62:63], s[62:63], exec
	s_and_saveexec_b64 s[74:75], s[72:73]
	s_cbranch_execz .LBB14_74
	s_branch .LBB14_78
.LBB14_77:                              ;   in Loop: Header=BB14_75 Depth=2
	s_trap 2
	ds_read_b64 v[18:19], v0
	s_andn2_b64 s[72:73], s[72:73], exec
	s_mov_b32 s78, 0
	s_waitcnt lgkmcnt(0)
	flat_load_dword v7, v[18:19] glc
	s_waitcnt vmcnt(0) lgkmcnt(0)
	buffer_wbinvl1_vol
	v_cmp_eq_u32_e32 vcc, 0, v7
	s_and_b64 s[74:75], vcc, exec
	s_or_b64 s[72:73], s[72:73], s[74:75]
	s_mov_b64 s[76:77], -1
	s_or_b64 s[62:63], s[62:63], exec
	s_and_saveexec_b64 s[74:75], s[72:73]
	s_cbranch_execz .LBB14_74
.LBB14_78:                              ;   in Loop: Header=BB14_75 Depth=2
	s_sleep 1
	s_trap 2
	ds_read_b64 v[18:19], v0
	s_waitcnt lgkmcnt(0)
	s_andn2_b64 s[62:63], s[62:63], exec
	v_cmp_ge_u64_e32 vcc, v[18:19], v[2:3]
	s_orn2_b64 s[76:77], vcc, exec
	s_branch .LBB14_74
.LBB14_79:                              ;   in Loop: Header=BB14_50 Depth=1
	s_or_b64 exec, exec, s[58:59]
	s_and_saveexec_b64 s[58:59], s[60:61]
	s_xor_b64 s[58:59], exec, s[58:59]
	s_cbranch_execz .LBB14_81
; %bb.80:                               ;   in Loop: Header=BB14_50 Depth=1
	v_mov_b32_e32 v7, 1
	ds_write_b32 v0, v7
	s_trap 2
.LBB14_81:                              ;   in Loop: Header=BB14_50 Depth=1
	s_or_b64 exec, exec, s[56:57]
	;;#ASMSTART
	s_wakeup
	;;#ASMEND
.LBB14_82:                              ;   in Loop: Header=BB14_50 Depth=1
	s_or_b64 exec, exec, s[46:47]
.LBB14_83:                              ;   in Loop: Header=BB14_50 Depth=1
	s_andn2_saveexec_b64 s[44:45], s[44:45]
	s_cbranch_execz .LBB14_85
; %bb.84:                               ;   in Loop: Header=BB14_50 Depth=1
	s_waitcnt vmcnt(0) lgkmcnt(0)
	buffer_wbinvl1_vol
	s_barrier
.LBB14_85:                              ;   in Loop: Header=BB14_50 Depth=1
	s_or_b64 exec, exec, s[44:45]
.LBB14_86:                              ;   in Loop: Header=BB14_50 Depth=1
	s_or_b64 exec, exec, s[16:17]
	v_lshlrev_b32_e32 v7, 3, v4
	v_sub_u32_e32 v7, v63, v7
	v_cmp_lt_i32_e32 vcc, 0, v7
	v_mov_b32_e32 v56, v4
	s_and_saveexec_b64 s[44:45], vcc
	s_cbranch_execz .LBB14_112
; %bb.87:                               ;   in Loop: Header=BB14_50 Depth=1
	v_and_b32_e32 v9, 7, v46
	v_mul_lo_u32 v28, v9, v54
	v_lshlrev_b32_e32 v9, 3, v4
	v_not_b32_e32 v9, v9
	v_add_u32_e32 v12, v9, v63
	buffer_load_dword v9, off, s[0:3], s32 offset:76 ; 4-byte Folded Reload
	buffer_load_dword v26, off, s[0:3], s32 offset:72 ; 4-byte Folded Reload
	v_ashrrev_i32_e32 v29, 31, v28
	v_mov_b32_e32 v59, 0
	v_add_u32_e32 v19, 1, v46
	s_mov_b64 s[46:47], 0
	v_mov_b32_e32 v60, 0
	v_mov_b32_e32 v56, v4
	s_waitcnt vmcnt(0)
	v_add_co_u32_e32 v22, vcc, v9, v20
	buffer_load_dword v9, off, s[0:3], s32 offset:80 ; 4-byte Folded Reload
	s_waitcnt vmcnt(0)
	v_addc_co_u32_e32 v25, vcc, v9, v21, vcc
	buffer_load_dword v9, off, s[0:3], s32 offset:152 ; 4-byte Folded Reload
	v_lshlrev_b64 v[20:21], 4, v[28:29]
	s_waitcnt vmcnt(0)
	v_add_co_u32_e32 v57, vcc, v9, v20
	buffer_load_dword v9, off, s[0:3], s32 offset:156 ; 4-byte Folded Reload
	s_waitcnt vmcnt(0)
	v_addc_co_u32_e32 v58, vcc, v9, v21, vcc
	s_branch .LBB14_89
.LBB14_88:                              ;   in Loop: Header=BB14_89 Depth=2
	v_add_co_u32_e32 v59, vcc, v59, v31
	v_sub_u32_e32 v7, v7, v31
	v_addc_co_u32_e32 v60, vcc, 0, v60, vcc
	v_cmp_gt_i32_e32 vcc, 1, v7
	v_lshlrev_b32_e32 v9, 6, v1
	s_or_b64 s[46:47], vcc, s[46:47]
	v_add_co_u32_e32 v57, vcc, v57, v40
	v_add_u32_e32 v56, v56, v1
	v_add_u32_e32 v26, v26, v9
	v_addc_co_u32_e32 v58, vcc, v58, v41, vcc
	s_andn2_b64 exec, exec, s[46:47]
	s_cbranch_execz .LBB14_111
.LBB14_89:                              ;   Parent Loop BB14_50 Depth=1
                                        ; =>  This Inner Loop Header: Depth=2
	v_add_co_u32_e32 v9, vcc, v5, v59
	v_addc_co_u32_e32 v21, vcc, v6, v60, vcc
	v_and_b32_e32 v20, -4, v9
	global_load_dword v18, v[20:21], off glc slc
	v_min_u32_e32 v28, 8, v7
	v_and_b32_e32 v9, 3, v9
	v_add_u32_e32 v29, v9, v28
	v_cmp_lt_u32_e32 vcc, 4, v29
	v_mov_b32_e32 v28, 0
	v_mov_b32_e32 v55, 0
	s_and_saveexec_b64 s[16:17], vcc
	s_cbranch_execz .LBB14_91
; %bb.90:                               ;   in Loop: Header=BB14_89 Depth=2
	global_load_dword v55, v[20:21], off offset:4 glc slc
.LBB14_91:                              ;   in Loop: Header=BB14_89 Depth=2
	s_or_b64 exec, exec, s[16:17]
	v_mov_b32_e32 v30, v17
	v_cmp_lt_u64_e32 vcc, 8, v[29:30]
	s_and_saveexec_b64 s[16:17], vcc
	s_cbranch_execz .LBB14_93
; %bb.92:                               ;   in Loop: Header=BB14_89 Depth=2
	global_load_dword v28, v[20:21], off offset:8 glc slc
.LBB14_93:                              ;   in Loop: Header=BB14_89 Depth=2
	s_or_b64 exec, exec, s[16:17]
	v_add_co_u32_e32 v61, vcc, v22, v59
	v_addc_co_u32_e32 v62, vcc, v25, v60, vcc
	v_cmp_lt_u32_e32 vcc, 7, v7
	s_waitcnt vmcnt(0)
	v_alignbit_b32 v18, v55, v18, v26
	v_alignbit_b32 v20, v28, v55, v26
	v_mov_b32_e32 v21, v19
	s_cmp_lg_u64 vcc, exec
	s_mov_b64 s[16:17], -1
	global_store_dwordx4 v[57:58], v[18:21], off
	s_cbranch_scc0 .LBB14_103
; %bb.94:                               ;   in Loop: Header=BB14_89 Depth=2
	v_cmp_ne_u32_e64 s[16:17], v12, v59
	flat_store_byte v[61:62], v18
	s_and_saveexec_b64 s[56:57], s[16:17]
	s_cbranch_execnz .LBB14_105
; %bb.95:                               ;   in Loop: Header=BB14_89 Depth=2
	s_or_b64 exec, exec, s[56:57]
	v_cmp_lt_u32_e64 s[16:17], 2, v7
	s_and_saveexec_b64 s[56:57], s[16:17]
	s_cbranch_execnz .LBB14_106
.LBB14_96:                              ;   in Loop: Header=BB14_89 Depth=2
	s_or_b64 exec, exec, s[56:57]
	v_cmp_lt_u32_e64 s[16:17], 3, v7
	s_and_saveexec_b64 s[56:57], s[16:17]
	s_cbranch_execnz .LBB14_107
.LBB14_97:                              ;   in Loop: Header=BB14_89 Depth=2
	s_or_b64 exec, exec, s[56:57]
	v_cmp_lt_u32_e64 s[16:17], 4, v7
	s_and_saveexec_b64 s[56:57], s[16:17]
	s_cbranch_execnz .LBB14_108
.LBB14_98:                              ;   in Loop: Header=BB14_89 Depth=2
	s_or_b64 exec, exec, s[56:57]
	v_cmp_lt_u32_e64 s[16:17], 5, v7
	s_and_saveexec_b64 s[56:57], s[16:17]
	s_cbranch_execnz .LBB14_109
.LBB14_99:                              ;   in Loop: Header=BB14_89 Depth=2
	s_or_b64 exec, exec, s[56:57]
	v_cmp_lt_u32_e64 s[16:17], 6, v7
	s_and_saveexec_b64 s[56:57], s[16:17]
	s_cbranch_execnz .LBB14_110
.LBB14_100:                             ;   in Loop: Header=BB14_89 Depth=2
	s_or_b64 exec, exec, s[56:57]
	s_and_saveexec_b64 s[16:17], vcc
	s_cbranch_execz .LBB14_102
.LBB14_101:                             ;   in Loop: Header=BB14_89 Depth=2
	v_lshrrev_b32_e32 v9, 24, v20
	flat_store_byte v[61:62], v9 offset:7
.LBB14_102:                             ;   in Loop: Header=BB14_89 Depth=2
	s_or_b64 exec, exec, s[16:17]
	s_mov_b64 s[16:17], 0
.LBB14_103:                             ;   in Loop: Header=BB14_89 Depth=2
	s_and_b64 vcc, exec, s[16:17]
	s_cbranch_vccz .LBB14_88
; %bb.104:                              ;   in Loop: Header=BB14_89 Depth=2
	v_mov_b32_e32 v28, v18
	v_mov_b32_e32 v29, v20
	global_store_dwordx2 v[61:62], v[28:29], off
	s_branch .LBB14_88
.LBB14_105:                             ;   in Loop: Header=BB14_89 Depth=2
	v_lshrrev_b32_e32 v9, 8, v18
	flat_store_byte v[61:62], v9 offset:1
	s_or_b64 exec, exec, s[56:57]
	v_cmp_lt_u32_e64 s[16:17], 2, v7
	s_and_saveexec_b64 s[56:57], s[16:17]
	s_cbranch_execz .LBB14_96
.LBB14_106:                             ;   in Loop: Header=BB14_89 Depth=2
	flat_store_byte_d16_hi v[61:62], v18 offset:2
	s_or_b64 exec, exec, s[56:57]
	v_cmp_lt_u32_e64 s[16:17], 3, v7
	s_and_saveexec_b64 s[56:57], s[16:17]
	s_cbranch_execz .LBB14_97
.LBB14_107:                             ;   in Loop: Header=BB14_89 Depth=2
	v_lshrrev_b32_e32 v9, 24, v18
	flat_store_byte v[61:62], v9 offset:3
	s_or_b64 exec, exec, s[56:57]
	v_cmp_lt_u32_e64 s[16:17], 4, v7
	s_and_saveexec_b64 s[56:57], s[16:17]
	s_cbranch_execz .LBB14_98
.LBB14_108:                             ;   in Loop: Header=BB14_89 Depth=2
	flat_store_byte v[61:62], v20 offset:4
	s_or_b64 exec, exec, s[56:57]
	v_cmp_lt_u32_e64 s[16:17], 5, v7
	s_and_saveexec_b64 s[56:57], s[16:17]
	s_cbranch_execz .LBB14_99
.LBB14_109:                             ;   in Loop: Header=BB14_89 Depth=2
	v_lshrrev_b32_e32 v9, 8, v20
	flat_store_byte v[61:62], v9 offset:5
	s_or_b64 exec, exec, s[56:57]
	v_cmp_lt_u32_e64 s[16:17], 6, v7
	s_and_saveexec_b64 s[56:57], s[16:17]
	s_cbranch_execz .LBB14_100
.LBB14_110:                             ;   in Loop: Header=BB14_89 Depth=2
	flat_store_byte_d16_hi v[61:62], v20 offset:6
	s_or_b64 exec, exec, s[56:57]
	s_and_saveexec_b64 s[16:17], vcc
	s_cbranch_execnz .LBB14_101
	s_branch .LBB14_102
.LBB14_111:                             ;   in Loop: Header=BB14_50 Depth=1
	s_or_b64 exec, exec, s[46:47]
	buffer_load_dword v18, off, s[0:3], s32 offset:92 ; 4-byte Folded Reload
	buffer_load_dword v19, off, s[0:3], s32 offset:96 ; 4-byte Folded Reload
	;; [unrolled: 1-line block ×4, first 2 shown]
	s_waitcnt vmcnt(0)
	v_mov_b32_e32 v29, v21
	v_mov_b32_e32 v28, v20
.LBB14_112:                             ;   in Loop: Header=BB14_50 Depth=1
	s_or_b64 exec, exec, s[44:45]
	v_and_b32_e32 v18, 0x7ffffff8, v46
	v_mov_b32_e32 v19, v17
	v_cmp_eq_u64_e32 vcc, s[42:43], v[18:19]
	v_cmp_lt_i32_e64 s[16:17], v56, v54
	s_and_b64 s[16:17], vcc, s[16:17]
	s_and_saveexec_b64 s[44:45], s[16:17]
	s_cbranch_execz .LBB14_115
; %bb.113:                              ;   in Loop: Header=BB14_50 Depth=1
	v_and_b32_e32 v7, 7, v46
	v_mul_lo_u32 v19, v7, v54
	v_ashrrev_i32_e32 v57, 31, v56
	v_lshlrev_b64 v[21:22], 4, v[56:57]
	v_add_u32_e32 v18, 1, v46
	v_ashrrev_i32_e32 v20, 31, v19
	v_lshlrev_b64 v[19:20], 4, v[19:20]
	s_mov_b64 s[46:47], 0
	v_add_co_u32_e32 v7, vcc, v21, v19
	v_addc_co_u32_e32 v9, vcc, v22, v20, vcc
	v_add_co_u32_e32 v21, vcc, v36, v7
	v_addc_co_u32_e32 v22, vcc, v37, v9, vcc
.LBB14_114:                             ;   Parent Loop BB14_50 Depth=1
                                        ; =>  This Inner Loop Header: Depth=2
	v_mov_b32_e32 v19, v17
	v_mov_b32_e32 v20, v18
	v_add_u32_e32 v56, v56, v1
	global_store_dwordx4 v[21:22], v[17:20], off
	v_add_co_u32_e32 v21, vcc, v21, v40
	v_cmp_ge_i32_e64 s[16:17], v56, v54
	s_or_b64 s[46:47], s[16:17], s[46:47]
	v_addc_co_u32_e32 v22, vcc, v22, v41, vcc
	s_andn2_b64 exec, exec, s[46:47]
	s_cbranch_execnz .LBB14_114
.LBB14_115:                             ;   in Loop: Header=BB14_50 Depth=1
	s_or_b64 exec, exec, s[44:45]
.LBB14_116:                             ;   in Loop: Header=BB14_50 Depth=1
	s_andn2_saveexec_b64 s[18:19], s[18:19]
	s_cbranch_execz .LBB14_164
; %bb.117:                              ;   in Loop: Header=BB14_50 Depth=1
	s_and_saveexec_b64 s[44:45], s[6:7]
	s_cbranch_execz .LBB14_133
; %bb.118:                              ;   in Loop: Header=BB14_50 Depth=1
	v_add_co_u32_e32 v18, vcc, 1, v15
	v_addc_co_u32_e32 v19, vcc, 0, v16, vcc
	s_waitcnt vmcnt(0) lgkmcnt(0)
	v_add_co_u32_e32 v20, vcc, 8, v52
	v_addc_co_u32_e32 v21, vcc, 0, v53, vcc
	v_cmp_lt_u64_e32 vcc, v[20:21], v[18:19]
	s_and_saveexec_b64 s[46:47], vcc
	s_cbranch_execz .LBB14_130
; %bb.119:                              ;   in Loop: Header=BB14_50 Depth=1
	s_mov_b32 s92, 0
	v_cmp_eq_u32_e32 vcc, 0, v8
	s_mov_b64 s[56:57], 0
                                        ; implicit-def: $sgpr58_sgpr59
                                        ; implicit-def: $sgpr60_sgpr61
                                        ; implicit-def: $sgpr62_sgpr63
	s_branch .LBB14_122
.LBB14_120:                             ;   in Loop: Header=BB14_122 Depth=2
	s_or_b64 exec, exec, s[88:89]
	s_andn2_b64 s[16:17], s[62:63], exec
	s_and_b64 s[62:63], s[76:77], exec
	s_or_b64 s[62:63], s[16:17], s[62:63]
	s_andn2_b64 s[16:17], s[60:61], exec
	s_and_b64 s[60:61], s[74:75], exec
	v_mov_b32_e32 v12, 0
	s_or_b64 s[60:61], s[16:17], s[60:61]
.LBB14_121:                             ;   in Loop: Header=BB14_122 Depth=2
	s_or_b64 exec, exec, s[72:73]
	s_and_b64 s[16:17], exec, s[60:61]
	s_or_b64 s[56:57], s[16:17], s[56:57]
	s_andn2_b64 s[16:17], s[58:59], exec
	s_and_b64 s[58:59], s[62:63], exec
	s_or_b64 s[58:59], s[16:17], s[58:59]
	s_andn2_b64 exec, exec, s[56:57]
	s_cbranch_execz .LBB14_127
.LBB14_122:                             ;   Parent Loop BB14_50 Depth=1
                                        ; =>  This Inner Loop Header: Depth=2
	s_sleep 1
	s_waitcnt vmcnt(0) lgkmcnt(0)
	flat_load_dwordx2 v[52:53], v[50:51] glc
	s_or_b64 s[62:63], s[62:63], exec
	s_or_b64 s[60:61], s[60:61], exec
	v_mov_b32_e32 v12, v8
                                        ; implicit-def: $vgpr7
	s_and_saveexec_b64 s[72:73], vcc
	s_cbranch_execz .LBB14_121
; %bb.123:                              ;   in Loop: Header=BB14_122 Depth=2
	s_add_i32 s92, s92, 1
	s_cmpk_lg_i32 s92, 0x2710
	s_cselect_b64 s[78:79], -1, 0
	s_cmpk_eq_i32 s92, 0x2710
	s_mov_b64 s[74:75], -1
	s_mov_b64 s[76:77], -1
                                        ; implicit-def: $vgpr7
	s_cbranch_scc1 .LBB14_125
; %bb.124:                              ;   in Loop: Header=BB14_122 Depth=2
	s_and_saveexec_b64 s[88:89], s[78:79]
	s_cbranch_execz .LBB14_120
	s_branch .LBB14_126
.LBB14_125:                             ;   in Loop: Header=BB14_122 Depth=2
	s_trap 2
	ds_read_b64 v[20:21], v0
	s_andn2_b64 s[78:79], s[78:79], exec
	s_mov_b32 s92, 0
	s_mov_b64 s[76:77], 0
	s_waitcnt vmcnt(0) lgkmcnt(0)
	flat_load_dword v7, v[20:21] glc
	s_waitcnt vmcnt(0) lgkmcnt(0)
	buffer_wbinvl1_vol
	v_cmp_eq_u32_e64 s[16:17], 0, v7
	s_and_b64 s[16:17], s[16:17], exec
	s_or_b64 s[78:79], s[78:79], s[16:17]
	s_and_saveexec_b64 s[88:89], s[78:79]
	s_cbranch_execz .LBB14_120
.LBB14_126:                             ;   in Loop: Header=BB14_122 Depth=2
	s_waitcnt vmcnt(0) lgkmcnt(0)
	v_add_co_u32_e64 v20, s[16:17], 8, v52
	v_addc_co_u32_e64 v21, s[16:17], 0, v53, s[16:17]
	v_cmp_ge_u64_e64 s[16:17], v[20:21], v[18:19]
	s_or_b64 s[76:77], s[76:77], exec
	s_orn2_b64 s[74:75], s[16:17], exec
	s_branch .LBB14_120
.LBB14_127:                             ;   in Loop: Header=BB14_50 Depth=1
	s_or_b64 exec, exec, s[56:57]
	s_xor_b64 s[16:17], s[58:59], -1
	s_and_saveexec_b64 s[56:57], s[16:17]
	s_xor_b64 s[16:17], exec, s[56:57]
	s_cbranch_execz .LBB14_129
; %bb.128:                              ;   in Loop: Header=BB14_50 Depth=1
	v_mov_b32_e32 v12, 1
	s_waitcnt lgkmcnt(0)
	ds_write_b32 v0, v7
	s_trap 2
.LBB14_129:                             ;   in Loop: Header=BB14_50 Depth=1
	s_or_b64 exec, exec, s[16:17]
	v_mov_b32_e32 v8, v12
.LBB14_130:                             ;   in Loop: Header=BB14_50 Depth=1
	s_or_b64 exec, exec, s[46:47]
	s_and_saveexec_b64 s[16:17], s[8:9]
	s_cbranch_execz .LBB14_132
; %bb.131:                              ;   in Loop: Header=BB14_50 Depth=1
	v_and_b32_e32 v7, 7, v15
	v_and_b32_e32 v20, 0x7ffffff8, v15
	v_mad_u64_u32 v[15:16], s[46:47], v7, 24, v[13:14]
	buffer_load_dword v7, off, s[0:3], s32 offset:64 ; 4-byte Folded Reload
	v_mov_b32_e32 v21, v17
	v_cmp_eq_u64_e32 vcc, s[42:43], v[20:21]
	s_waitcnt vmcnt(0)
	v_cndmask_b32_e32 v7, v7, v54, vcc
	v_lshlrev_b32_e32 v20, 4, v7
	v_ashrrev_i32_e32 v21, 31, v20
	flat_store_dwordx2 v[15:16], v[20:21] offset:8
	s_waitcnt vmcnt(0)
.LBB14_132:                             ;   in Loop: Header=BB14_50 Depth=1
	s_or_b64 exec, exec, s[16:17]
	v_mov_b32_e32 v15, v18
	v_mov_b32_e32 v16, v19
.LBB14_133:                             ;   in Loop: Header=BB14_50 Depth=1
	s_or_b64 exec, exec, s[44:45]
	s_and_saveexec_b64 s[16:17], s[10:11]
	s_cbranch_execz .LBB14_152
; %bb.134:                              ;   in Loop: Header=BB14_50 Depth=1
	s_and_saveexec_b64 s[44:45], s[28:29]
	s_xor_b64 s[44:45], exec, s[44:45]
	s_cbranch_execz .LBB14_149
; %bb.135:                              ;   in Loop: Header=BB14_50 Depth=1
	s_and_saveexec_b64 s[46:47], s[12:13]
	s_cbranch_execz .LBB14_148
; %bb.136:                              ;   in Loop: Header=BB14_50 Depth=1
	s_mov_b64 s[58:59], exec
	v_mbcnt_lo_u32_b32 v7, s58, 0
	v_mbcnt_hi_u32_b32 v7, s59, v7
	v_cmp_eq_u32_e32 vcc, 0, v7
	s_waitcnt vmcnt(0) lgkmcnt(0)
	buffer_wbinvl1_vol
	s_and_saveexec_b64 s[56:57], vcc
	s_cbranch_execz .LBB14_138
; %bb.137:                              ;   in Loop: Header=BB14_50 Depth=1
	s_bcnt1_i32_b64 s58, s[58:59]
	v_mov_b32_e32 v18, s58
	v_mov_b32_e32 v19, v17
	ds_add_u64 v0, v[18:19]
	s_trap 2
.LBB14_138:                             ;   in Loop: Header=BB14_50 Depth=1
	s_or_b64 exec, exec, s[56:57]
	s_trap 2
	ds_read_b64 v[18:19], v0
	s_waitcnt lgkmcnt(0)
	buffer_load_dword v7, off, s[0:3], s32 offset:68 ; 4-byte Folded Reload
	s_waitcnt vmcnt(0)
	v_add_co_u32_e32 v2, vcc, v2, v7
	v_addc_co_u32_e32 v3, vcc, 0, v3, vcc
	v_cmp_lt_u64_e32 vcc, v[18:19], v[2:3]
	s_and_saveexec_b64 s[56:57], vcc
	s_cbranch_execz .LBB14_147
; %bb.139:                              ;   in Loop: Header=BB14_50 Depth=1
	s_mov_b32 s78, 0
	s_mov_b64 s[58:59], 0
                                        ; implicit-def: $sgpr60_sgpr61
                                        ; implicit-def: $sgpr62_sgpr63
	s_branch .LBB14_141
.LBB14_140:                             ;   in Loop: Header=BB14_141 Depth=2
	s_or_b64 exec, exec, s[74:75]
	s_and_b64 s[72:73], exec, s[76:77]
	s_or_b64 s[58:59], s[72:73], s[58:59]
	s_andn2_b64 s[60:61], s[60:61], exec
	s_and_b64 s[72:73], s[62:63], exec
	s_or_b64 s[60:61], s[60:61], s[72:73]
	s_andn2_b64 exec, exec, s[58:59]
	s_cbranch_execz .LBB14_145
.LBB14_141:                             ;   Parent Loop BB14_50 Depth=1
                                        ; =>  This Inner Loop Header: Depth=2
	s_add_i32 s78, s78, 1
	s_cmpk_lg_i32 s78, 0x2710
	s_cselect_b64 s[72:73], -1, 0
	s_and_b64 vcc, exec, s[72:73]
	s_cbranch_vccz .LBB14_143
; %bb.142:                              ;   in Loop: Header=BB14_141 Depth=2
	s_mov_b64 s[76:77], -1
	s_or_b64 s[62:63], s[62:63], exec
	s_and_saveexec_b64 s[74:75], s[72:73]
	s_cbranch_execz .LBB14_140
	s_branch .LBB14_144
.LBB14_143:                             ;   in Loop: Header=BB14_141 Depth=2
	s_trap 2
	ds_read_b64 v[18:19], v0
	s_andn2_b64 s[72:73], s[72:73], exec
	s_mov_b32 s78, 0
	s_waitcnt lgkmcnt(0)
	flat_load_dword v7, v[18:19] glc
	s_waitcnt vmcnt(0) lgkmcnt(0)
	buffer_wbinvl1_vol
	v_cmp_eq_u32_e32 vcc, 0, v7
	s_and_b64 s[74:75], vcc, exec
	s_or_b64 s[72:73], s[72:73], s[74:75]
	s_mov_b64 s[76:77], -1
	s_or_b64 s[62:63], s[62:63], exec
	s_and_saveexec_b64 s[74:75], s[72:73]
	s_cbranch_execz .LBB14_140
.LBB14_144:                             ;   in Loop: Header=BB14_141 Depth=2
	s_sleep 1
	s_trap 2
	ds_read_b64 v[18:19], v0
	s_waitcnt lgkmcnt(0)
	s_andn2_b64 s[62:63], s[62:63], exec
	v_cmp_ge_u64_e32 vcc, v[18:19], v[2:3]
	s_orn2_b64 s[76:77], vcc, exec
	s_branch .LBB14_140
.LBB14_145:                             ;   in Loop: Header=BB14_50 Depth=1
	s_or_b64 exec, exec, s[58:59]
	s_and_saveexec_b64 s[58:59], s[60:61]
	s_xor_b64 s[58:59], exec, s[58:59]
	s_cbranch_execz .LBB14_147
; %bb.146:                              ;   in Loop: Header=BB14_50 Depth=1
	v_mov_b32_e32 v7, 1
	ds_write_b32 v0, v7
	s_trap 2
.LBB14_147:                             ;   in Loop: Header=BB14_50 Depth=1
	s_or_b64 exec, exec, s[56:57]
	;;#ASMSTART
	s_wakeup
	;;#ASMEND
.LBB14_148:                             ;   in Loop: Header=BB14_50 Depth=1
	s_or_b64 exec, exec, s[46:47]
.LBB14_149:                             ;   in Loop: Header=BB14_50 Depth=1
	s_andn2_saveexec_b64 s[44:45], s[44:45]
	s_cbranch_execz .LBB14_151
; %bb.150:                              ;   in Loop: Header=BB14_50 Depth=1
	s_waitcnt vmcnt(0) lgkmcnt(0)
	buffer_wbinvl1_vol
	s_barrier
.LBB14_151:                             ;   in Loop: Header=BB14_50 Depth=1
	s_or_b64 exec, exec, s[44:45]
.LBB14_152:                             ;   in Loop: Header=BB14_50 Depth=1
	s_or_b64 exec, exec, s[16:17]
	v_lshlrev_b32_e32 v7, 3, v4
	v_sub_u32_e32 v12, v63, v7
	v_cmp_lt_i32_e32 vcc, 0, v12
	v_and_b32_e32 v7, 7, v46
	v_add_u32_e32 v19, 1, v46
	v_mov_b32_e32 v56, v4
	s_and_saveexec_b64 s[16:17], vcc
	s_cbranch_execz .LBB14_160
; %bb.153:                              ;   in Loop: Header=BB14_50 Depth=1
	buffer_load_dword v9, off, s[0:3], s32 offset:152 ; 4-byte Folded Reload
	buffer_load_dword v22, off, s[0:3], s32 offset:72 ; 4-byte Folded Reload
	v_mul_lo_u32 v20, v7, v54
	v_mov_b32_e32 v30, v6
	s_mov_b64 s[44:45], 0
	v_mov_b32_e32 v29, v5
	v_ashrrev_i32_e32 v21, 31, v20
	v_lshlrev_b64 v[20:21], 4, v[20:21]
	v_mov_b32_e32 v56, v4
	s_waitcnt vmcnt(0)
	v_add_co_u32_e32 v57, vcc, v9, v20
	buffer_load_dword v9, off, s[0:3], s32 offset:156 ; 4-byte Folded Reload
	s_waitcnt vmcnt(0)
	v_addc_co_u32_e32 v58, vcc, v9, v21, vcc
	s_branch .LBB14_155
.LBB14_154:                             ;   in Loop: Header=BB14_155 Depth=2
	s_or_b64 exec, exec, s[46:47]
	v_add_co_u32_e32 v29, vcc, v29, v31
	v_sub_u32_e32 v12, v12, v31
	v_addc_co_u32_e32 v30, vcc, 0, v30, vcc
	s_waitcnt vmcnt(0)
	v_alignbit_b32 v18, v26, v18, v22
	v_alignbit_b32 v20, v25, v26, v22
	v_mov_b32_e32 v21, v19
	v_cmp_gt_i32_e32 vcc, 1, v12
	global_store_dwordx4 v[57:58], v[18:21], off
	v_lshlrev_b32_e32 v9, 6, v1
	s_or_b64 s[44:45], vcc, s[44:45]
	v_add_co_u32_e32 v57, vcc, v57, v40
	v_add_u32_e32 v56, v56, v1
	v_add_u32_e32 v22, v22, v9
	v_addc_co_u32_e32 v58, vcc, v58, v41, vcc
	s_andn2_b64 exec, exec, s[44:45]
	s_cbranch_execz .LBB14_159
.LBB14_155:                             ;   Parent Loop BB14_50 Depth=1
                                        ; =>  This Inner Loop Header: Depth=2
	v_and_b32_e32 v20, -4, v29
	v_mov_b32_e32 v21, v30
	global_load_dword v18, v[20:21], off glc slc
	v_min_u32_e32 v9, 8, v12
	v_and_b32_e32 v25, 3, v29
	v_add_u32_e32 v59, v25, v9
	v_cmp_lt_u32_e32 vcc, 4, v59
	v_mov_b32_e32 v25, 0
	v_mov_b32_e32 v26, 0
	s_and_saveexec_b64 s[46:47], vcc
	s_cbranch_execz .LBB14_157
; %bb.156:                              ;   in Loop: Header=BB14_155 Depth=2
	global_load_dword v26, v[20:21], off offset:4 glc slc
.LBB14_157:                             ;   in Loop: Header=BB14_155 Depth=2
	s_or_b64 exec, exec, s[46:47]
	v_mov_b32_e32 v60, v17
	v_cmp_lt_u64_e32 vcc, 8, v[59:60]
	s_and_saveexec_b64 s[46:47], vcc
	s_cbranch_execz .LBB14_154
; %bb.158:                              ;   in Loop: Header=BB14_155 Depth=2
	global_load_dword v25, v[20:21], off offset:8 glc slc
	s_branch .LBB14_154
.LBB14_159:                             ;   in Loop: Header=BB14_50 Depth=1
	s_or_b64 exec, exec, s[44:45]
	buffer_load_dword v57, off, s[0:3], s32 offset:92 ; 4-byte Folded Reload
	buffer_load_dword v58, off, s[0:3], s32 offset:96 ; 4-byte Folded Reload
	;; [unrolled: 1-line block ×4, first 2 shown]
	s_waitcnt vmcnt(0)
	v_mov_b32_e32 v28, v59
	v_mov_b32_e32 v29, v60
.LBB14_160:                             ;   in Loop: Header=BB14_50 Depth=1
	s_or_b64 exec, exec, s[16:17]
	v_and_b32_e32 v20, 0x7ffffff8, v46
	v_mov_b32_e32 v21, v17
	v_cmp_eq_u64_e32 vcc, s[42:43], v[20:21]
	v_cmp_lt_i32_e64 s[16:17], v56, v54
	s_and_b64 s[16:17], vcc, s[16:17]
	s_and_saveexec_b64 s[44:45], s[16:17]
	s_cbranch_execz .LBB14_163
; %bb.161:                              ;   in Loop: Header=BB14_50 Depth=1
	v_mul_lo_u32 v20, v7, v54
	v_ashrrev_i32_e32 v57, 31, v56
	v_mov_b32_e32 v18, v19
	v_lshlrev_b64 v[25:26], 4, v[56:57]
	v_ashrrev_i32_e32 v21, 31, v20
	v_lshlrev_b64 v[19:20], 4, v[20:21]
	s_mov_b64 s[46:47], 0
	v_add_co_u32_e32 v7, vcc, v25, v19
	v_addc_co_u32_e32 v9, vcc, v26, v20, vcc
	v_add_co_u32_e32 v21, vcc, v36, v7
	v_addc_co_u32_e32 v22, vcc, v37, v9, vcc
.LBB14_162:                             ;   Parent Loop BB14_50 Depth=1
                                        ; =>  This Inner Loop Header: Depth=2
	v_mov_b32_e32 v19, v17
	v_mov_b32_e32 v20, v18
	v_add_u32_e32 v56, v56, v1
	global_store_dwordx4 v[21:22], v[17:20], off
	v_add_co_u32_e32 v21, vcc, v21, v40
	v_cmp_ge_i32_e64 s[16:17], v56, v54
	s_or_b64 s[46:47], s[16:17], s[46:47]
	v_addc_co_u32_e32 v22, vcc, v22, v41, vcc
	s_andn2_b64 exec, exec, s[46:47]
	s_cbranch_execnz .LBB14_162
.LBB14_163:                             ;   in Loop: Header=BB14_50 Depth=1
	s_or_b64 exec, exec, s[44:45]
.LBB14_164:                             ;   in Loop: Header=BB14_50 Depth=1
	s_or_b64 exec, exec, s[18:19]
	v_lshlrev_b32_e32 v7, 3, v4
	s_mov_b64 s[16:17], -1
	s_andn2_b64 vcc, exec, s[40:41]
	v_sub_u32_e32 v7, v63, v7
                                        ; implicit-def: $vgpr12
	s_cbranch_vccnz .LBB14_166
; %bb.165:                              ;   in Loop: Header=BB14_50 Depth=1
	v_lshlrev_b32_e32 v9, 3, v4
	v_sub_u32_e32 v12, v63, v9
	s_mov_b64 s[16:17], 0
.LBB14_166:                             ;   in Loop: Header=BB14_50 Depth=1
	s_andn2_b64 vcc, exec, s[16:17]
	v_add_co_u32_e64 v56, s[16:17], 1, v46
	v_addc_co_u32_e64 v57, s[16:17], 0, v47, s[16:17]
	s_cbranch_vccnz .LBB14_263
; %bb.167:                              ;   in Loop: Header=BB14_50 Depth=1
	buffer_load_dword v9, off, s[0:3], s32 offset:144 ; 4-byte Folded Reload
	v_cmp_lt_i32_e64 s[16:17], 0, v7
	s_mov_b32 s92, 1
	s_waitcnt vmcnt(0)
	v_add_co_u32_e32 v58, vcc, v9, v10
	buffer_load_dword v9, off, s[0:3], s32 offset:148 ; 4-byte Folded Reload
	v_add_u16_e32 v10, 1, v46
	s_waitcnt vmcnt(0)
	v_addc_co_u32_e32 v59, vcc, v9, v11, vcc
.LBB14_168:                             ;   Parent Loop BB14_50 Depth=1
                                        ; =>  This Loop Header: Depth=2
                                        ;       Child Loop BB14_173 Depth 3
                                        ;       Child Loop BB14_192 Depth 3
                                        ;       Child Loop BB14_214 Depth 3
                                        ;         Child Loop BB14_218 Depth 4
                                        ;       Child Loop BB14_252 Depth 3
                                        ;       Child Loop BB14_209 Depth 3
	s_sub_i32 s18, s90, s92
	s_ashr_i32 s19, s18, 31
	s_lshl_b64 s[18:19], s[18:19], 2
	v_mov_b32_e32 v9, s19
	v_add_co_u32_e32 v11, vcc, s18, v23
	v_addc_co_u32_e32 v12, vcc, v24, v9, vcc
	flat_load_dword v11, v[11:12]
	s_and_saveexec_b64 s[44:45], s[6:7]
	s_cbranch_execz .LBB14_184
; %bb.169:                              ;   in Loop: Header=BB14_168 Depth=2
	v_add_co_u32_e32 v18, vcc, 1, v15
	v_addc_co_u32_e32 v19, vcc, 0, v16, vcc
	s_waitcnt lgkmcnt(0)
	v_add_co_u32_e32 v20, vcc, 8, v52
	v_addc_co_u32_e32 v21, vcc, 0, v53, vcc
	v_cmp_lt_u64_e32 vcc, v[20:21], v[18:19]
	s_and_saveexec_b64 s[46:47], vcc
	s_cbranch_execz .LBB14_181
; %bb.170:                              ;   in Loop: Header=BB14_168 Depth=2
	s_mov_b32 s93, 0
	v_cmp_eq_u32_e32 vcc, 0, v8
	s_mov_b64 s[56:57], 0
                                        ; implicit-def: $sgpr58_sgpr59
                                        ; implicit-def: $sgpr60_sgpr61
                                        ; implicit-def: $sgpr62_sgpr63
	s_branch .LBB14_173
.LBB14_171:                             ;   in Loop: Header=BB14_173 Depth=3
	s_or_b64 exec, exec, s[88:89]
	s_andn2_b64 s[18:19], s[62:63], exec
	s_and_b64 s[62:63], s[76:77], exec
	s_or_b64 s[62:63], s[18:19], s[62:63]
	s_andn2_b64 s[18:19], s[60:61], exec
	s_and_b64 s[60:61], s[74:75], exec
	v_mov_b32_e32 v16, 0
	s_or_b64 s[60:61], s[18:19], s[60:61]
.LBB14_172:                             ;   in Loop: Header=BB14_173 Depth=3
	s_or_b64 exec, exec, s[72:73]
	s_and_b64 s[18:19], exec, s[60:61]
	s_or_b64 s[56:57], s[18:19], s[56:57]
	s_andn2_b64 s[18:19], s[58:59], exec
	s_and_b64 s[58:59], s[62:63], exec
	s_or_b64 s[58:59], s[18:19], s[58:59]
	s_andn2_b64 exec, exec, s[56:57]
	s_cbranch_execz .LBB14_178
.LBB14_173:                             ;   Parent Loop BB14_50 Depth=1
                                        ;     Parent Loop BB14_168 Depth=2
                                        ; =>    This Inner Loop Header: Depth=3
	s_sleep 1
	s_waitcnt vmcnt(0) lgkmcnt(0)
	flat_load_dwordx2 v[52:53], v[50:51] glc
	s_or_b64 s[62:63], s[62:63], exec
	s_or_b64 s[60:61], s[60:61], exec
	v_mov_b32_e32 v16, v8
                                        ; implicit-def: $vgpr12
	s_and_saveexec_b64 s[72:73], vcc
	s_cbranch_execz .LBB14_172
; %bb.174:                              ;   in Loop: Header=BB14_173 Depth=3
	s_add_i32 s93, s93, 1
	s_cmpk_lg_i32 s93, 0x2710
	s_cselect_b64 s[78:79], -1, 0
	s_cmpk_eq_i32 s93, 0x2710
	s_mov_b64 s[74:75], -1
	s_mov_b64 s[76:77], -1
                                        ; implicit-def: $vgpr12
	s_cbranch_scc1 .LBB14_176
; %bb.175:                              ;   in Loop: Header=BB14_173 Depth=3
	s_and_saveexec_b64 s[88:89], s[78:79]
	s_cbranch_execz .LBB14_171
	s_branch .LBB14_177
.LBB14_176:                             ;   in Loop: Header=BB14_173 Depth=3
	s_trap 2
	ds_read_b64 v[20:21], v0
	s_andn2_b64 s[78:79], s[78:79], exec
	s_mov_b32 s93, 0
	s_mov_b64 s[76:77], 0
	s_waitcnt vmcnt(0) lgkmcnt(0)
	flat_load_dword v12, v[20:21] glc
	s_waitcnt vmcnt(0) lgkmcnt(0)
	buffer_wbinvl1_vol
	v_cmp_eq_u32_e64 s[18:19], 0, v12
	s_and_b64 s[18:19], s[18:19], exec
	s_or_b64 s[78:79], s[78:79], s[18:19]
	s_and_saveexec_b64 s[88:89], s[78:79]
	s_cbranch_execz .LBB14_171
.LBB14_177:                             ;   in Loop: Header=BB14_173 Depth=3
	s_waitcnt vmcnt(0) lgkmcnt(0)
	v_add_co_u32_e64 v20, s[18:19], 8, v52
	v_addc_co_u32_e64 v21, s[18:19], 0, v53, s[18:19]
	v_cmp_ge_u64_e64 s[18:19], v[20:21], v[18:19]
	s_or_b64 s[76:77], s[76:77], exec
	s_orn2_b64 s[74:75], s[18:19], exec
	s_branch .LBB14_171
.LBB14_178:                             ;   in Loop: Header=BB14_168 Depth=2
	s_or_b64 exec, exec, s[56:57]
	s_xor_b64 s[18:19], s[58:59], -1
	s_and_saveexec_b64 s[56:57], s[18:19]
	s_xor_b64 s[18:19], exec, s[56:57]
	s_cbranch_execz .LBB14_180
; %bb.179:                              ;   in Loop: Header=BB14_168 Depth=2
	v_mov_b32_e32 v16, 1
	s_waitcnt lgkmcnt(0)
	ds_write_b32 v0, v12
	s_trap 2
.LBB14_180:                             ;   in Loop: Header=BB14_168 Depth=2
	s_or_b64 exec, exec, s[18:19]
	v_mov_b32_e32 v8, v16
.LBB14_181:                             ;   in Loop: Header=BB14_168 Depth=2
	s_or_b64 exec, exec, s[46:47]
	s_and_saveexec_b64 s[18:19], s[8:9]
	s_cbranch_execz .LBB14_183
; %bb.182:                              ;   in Loop: Header=BB14_168 Depth=2
	v_and_b32_e32 v9, 7, v15
	v_and_b32_e32 v20, 0x7ffffff8, v15
	v_mad_u64_u32 v[15:16], s[46:47], v9, 24, v[13:14]
	buffer_load_dword v9, off, s[0:3], s32 offset:64 ; 4-byte Folded Reload
	v_mov_b32_e32 v21, v17
	v_cmp_eq_u64_e32 vcc, s[42:43], v[20:21]
	s_waitcnt vmcnt(0)
	v_cndmask_b32_e32 v9, v9, v54, vcc
	v_lshlrev_b32_e32 v20, 4, v9
	v_ashrrev_i32_e32 v21, 31, v20
	flat_store_dwordx2 v[15:16], v[20:21] offset:8
	s_waitcnt vmcnt(0)
.LBB14_183:                             ;   in Loop: Header=BB14_168 Depth=2
	s_or_b64 exec, exec, s[18:19]
	v_mov_b32_e32 v15, v18
	v_mov_b32_e32 v16, v19
.LBB14_184:                             ;   in Loop: Header=BB14_168 Depth=2
	s_or_b64 exec, exec, s[44:45]
	s_and_saveexec_b64 s[18:19], s[10:11]
	s_cbranch_execz .LBB14_203
; %bb.185:                              ;   in Loop: Header=BB14_168 Depth=2
	s_and_saveexec_b64 s[44:45], s[28:29]
	s_xor_b64 s[44:45], exec, s[44:45]
	s_cbranch_execz .LBB14_200
; %bb.186:                              ;   in Loop: Header=BB14_168 Depth=2
	s_and_saveexec_b64 s[46:47], s[12:13]
	s_cbranch_execz .LBB14_199
; %bb.187:                              ;   in Loop: Header=BB14_168 Depth=2
	s_mov_b64 s[58:59], exec
	v_mbcnt_lo_u32_b32 v9, s58, 0
	v_mbcnt_hi_u32_b32 v9, s59, v9
	v_cmp_eq_u32_e32 vcc, 0, v9
	s_waitcnt vmcnt(0) lgkmcnt(0)
	buffer_wbinvl1_vol
	s_and_saveexec_b64 s[56:57], vcc
	s_cbranch_execz .LBB14_189
; %bb.188:                              ;   in Loop: Header=BB14_168 Depth=2
	s_bcnt1_i32_b64 s58, s[58:59]
	v_mov_b32_e32 v18, s58
	v_mov_b32_e32 v19, v17
	ds_add_u64 v0, v[18:19]
	s_trap 2
.LBB14_189:                             ;   in Loop: Header=BB14_168 Depth=2
	s_or_b64 exec, exec, s[56:57]
	s_trap 2
	ds_read_b64 v[18:19], v0
	s_waitcnt lgkmcnt(0)
	buffer_load_dword v9, off, s[0:3], s32 offset:68 ; 4-byte Folded Reload
	s_waitcnt vmcnt(0)
	v_add_co_u32_e32 v2, vcc, v2, v9
	v_addc_co_u32_e32 v3, vcc, 0, v3, vcc
	v_cmp_lt_u64_e32 vcc, v[18:19], v[2:3]
	s_and_saveexec_b64 s[56:57], vcc
	s_cbranch_execz .LBB14_198
; %bb.190:                              ;   in Loop: Header=BB14_168 Depth=2
	s_mov_b32 s78, 0
	s_mov_b64 s[58:59], 0
                                        ; implicit-def: $sgpr60_sgpr61
                                        ; implicit-def: $sgpr62_sgpr63
	s_branch .LBB14_192
.LBB14_191:                             ;   in Loop: Header=BB14_192 Depth=3
	s_or_b64 exec, exec, s[74:75]
	s_and_b64 s[72:73], exec, s[76:77]
	s_or_b64 s[58:59], s[72:73], s[58:59]
	s_andn2_b64 s[60:61], s[60:61], exec
	s_and_b64 s[72:73], s[62:63], exec
	s_or_b64 s[60:61], s[60:61], s[72:73]
	s_andn2_b64 exec, exec, s[58:59]
	s_cbranch_execz .LBB14_196
.LBB14_192:                             ;   Parent Loop BB14_50 Depth=1
                                        ;     Parent Loop BB14_168 Depth=2
                                        ; =>    This Inner Loop Header: Depth=3
	s_add_i32 s78, s78, 1
	s_cmpk_lg_i32 s78, 0x2710
	s_cselect_b64 s[72:73], -1, 0
	s_and_b64 vcc, exec, s[72:73]
	s_cbranch_vccz .LBB14_194
; %bb.193:                              ;   in Loop: Header=BB14_192 Depth=3
	s_mov_b64 s[76:77], -1
	s_or_b64 s[62:63], s[62:63], exec
	s_and_saveexec_b64 s[74:75], s[72:73]
	s_cbranch_execz .LBB14_191
	s_branch .LBB14_195
.LBB14_194:                             ;   in Loop: Header=BB14_192 Depth=3
	s_trap 2
	ds_read_b64 v[18:19], v0
	s_andn2_b64 s[72:73], s[72:73], exec
	s_mov_b32 s78, 0
	s_waitcnt lgkmcnt(0)
	flat_load_dword v9, v[18:19] glc
	s_waitcnt vmcnt(0) lgkmcnt(0)
	buffer_wbinvl1_vol
	v_cmp_eq_u32_e32 vcc, 0, v9
	s_and_b64 s[74:75], vcc, exec
	s_or_b64 s[72:73], s[72:73], s[74:75]
	s_mov_b64 s[76:77], -1
	s_or_b64 s[62:63], s[62:63], exec
	s_and_saveexec_b64 s[74:75], s[72:73]
	s_cbranch_execz .LBB14_191
.LBB14_195:                             ;   in Loop: Header=BB14_192 Depth=3
	s_sleep 1
	s_trap 2
	ds_read_b64 v[18:19], v0
	s_waitcnt lgkmcnt(0)
	s_andn2_b64 s[62:63], s[62:63], exec
	v_cmp_ge_u64_e32 vcc, v[18:19], v[2:3]
	s_orn2_b64 s[76:77], vcc, exec
	s_branch .LBB14_191
.LBB14_196:                             ;   in Loop: Header=BB14_168 Depth=2
	s_or_b64 exec, exec, s[58:59]
	s_and_saveexec_b64 s[58:59], s[60:61]
	s_xor_b64 s[58:59], exec, s[58:59]
	s_cbranch_execz .LBB14_198
; %bb.197:                              ;   in Loop: Header=BB14_168 Depth=2
	v_mov_b32_e32 v9, 1
	ds_write_b32 v0, v9
	s_trap 2
.LBB14_198:                             ;   in Loop: Header=BB14_168 Depth=2
	s_or_b64 exec, exec, s[56:57]
	;;#ASMSTART
	s_wakeup
	;;#ASMEND
.LBB14_199:                             ;   in Loop: Header=BB14_168 Depth=2
	s_or_b64 exec, exec, s[46:47]
.LBB14_200:                             ;   in Loop: Header=BB14_168 Depth=2
	s_andn2_saveexec_b64 s[44:45], s[44:45]
	s_cbranch_execz .LBB14_202
; %bb.201:                              ;   in Loop: Header=BB14_168 Depth=2
	s_waitcnt vmcnt(0) lgkmcnt(0)
	buffer_wbinvl1_vol
	s_barrier
.LBB14_202:                             ;   in Loop: Header=BB14_168 Depth=2
	s_or_b64 exec, exec, s[44:45]
.LBB14_203:                             ;   in Loop: Header=BB14_168 Depth=2
	s_or_b64 exec, exec, s[18:19]
	v_add_u32_e32 v18, 1, v56
	v_mov_b32_e32 v46, v4
	s_and_saveexec_b64 s[44:45], s[16:17]
	s_cbranch_execnz .LBB14_212
; %bb.204:                              ;   in Loop: Header=BB14_168 Depth=2
	s_or_b64 exec, exec, s[44:45]
	s_and_saveexec_b64 s[18:19], s[10:11]
	s_cbranch_execnz .LBB14_245
.LBB14_205:                             ;   in Loop: Header=BB14_168 Depth=2
	s_or_b64 exec, exec, s[18:19]
	s_and_saveexec_b64 s[18:19], s[14:15]
	s_cbranch_execz .LBB14_207
.LBB14_206:                             ;   in Loop: Header=BB14_168 Depth=2
	v_add_co_u32_e32 v38, vcc, 1, v38
	v_addc_co_u32_e32 v39, vcc, 0, v39, vcc
	flat_store_dwordx2 v[48:49], v[38:39]
.LBB14_207:                             ;   in Loop: Header=BB14_168 Depth=2
	s_or_b64 exec, exec, s[18:19]
	s_waitcnt vmcnt(0) lgkmcnt(0)
	v_and_b32_e32 v11, 0x7ffffff8, v56
	v_mov_b32_e32 v12, v17
	v_cmp_eq_u64_e32 vcc, s[42:43], v[11:12]
	v_cmp_lt_i32_e64 s[18:19], v46, v54
	s_and_b64 s[18:19], vcc, s[18:19]
	s_and_saveexec_b64 s[44:45], s[18:19]
	s_cbranch_execz .LBB14_210
; %bb.208:                              ;   in Loop: Header=BB14_168 Depth=2
	v_and_b32_e32 v9, 7, v10
	v_mul_lo_u32 v11, v54, v9
	v_ashrrev_i32_e32 v47, 31, v46
	v_lshlrev_b64 v[19:20], 4, v[46:47]
	s_mov_b64 s[46:47], 0
	v_ashrrev_i32_e32 v12, 31, v11
	v_lshlrev_b64 v[11:12], 4, v[11:12]
	v_add_co_u32_e32 v9, vcc, v19, v11
	v_addc_co_u32_e32 v11, vcc, v20, v12, vcc
	v_add_co_u32_e32 v21, vcc, v36, v9
	v_addc_co_u32_e32 v22, vcc, v37, v11, vcc
.LBB14_209:                             ;   Parent Loop BB14_50 Depth=1
                                        ;     Parent Loop BB14_168 Depth=2
                                        ; =>    This Inner Loop Header: Depth=3
	v_mov_b32_e32 v19, v17
	v_mov_b32_e32 v20, v18
	v_add_u32_e32 v46, v46, v1
	global_store_dwordx4 v[21:22], v[17:20], off
	v_add_co_u32_e32 v21, vcc, v21, v40
	v_cmp_ge_i32_e64 s[18:19], v46, v54
	s_or_b64 s[46:47], s[18:19], s[46:47]
	v_addc_co_u32_e32 v22, vcc, v22, v41, vcc
	s_andn2_b64 exec, exec, s[46:47]
	s_cbranch_execnz .LBB14_209
.LBB14_210:                             ;   in Loop: Header=BB14_168 Depth=2
	s_or_b64 exec, exec, s[44:45]
	v_add_co_u32_e32 v34, vcc, 1, v34
	v_addc_co_u32_e32 v35, vcc, 0, v35, vcc
	s_add_i32 s18, s92, 1
	v_add_co_u32_e32 v56, vcc, 1, v56
	v_addc_co_u32_e32 v57, vcc, 0, v57, vcc
	s_cmp_eq_u32 s92, s91
	v_add_u16_e32 v10, 1, v10
	s_cbranch_scc1 .LBB14_264
; %bb.211:                              ;   in Loop: Header=BB14_168 Depth=2
	s_mov_b32 s92, s18
	s_branch .LBB14_168
.LBB14_212:                             ;   in Loop: Header=BB14_168 Depth=2
	s_waitcnt vmcnt(0) lgkmcnt(0)
	v_ashrrev_i32_e32 v9, 31, v11
	v_mad_u64_u32 v[60:61], s[18:19], v0, v11, v[58:59]
	v_mul_lo_u32 v12, v27, v11
	v_mul_lo_u32 v9, v0, v9
	v_and_b32_e32 v11, 7, v34
	v_mul_lo_u32 v11, v11, v54
	v_add_u32_e32 v25, 1, v34
	v_add3_u32 v61, v12, v61, v9
	v_and_b32_e32 v9, 7, v56
	v_mul_lo_u32 v19, v9, v54
	v_ashrrev_i32_e32 v12, 31, v11
	v_lshlrev_b64 v[11:12], 4, v[11:12]
	s_mov_b64 s[46:47], 0
	v_ashrrev_i32_e32 v20, 31, v19
	v_add_co_u32_e32 v11, vcc, v32, v11
	v_lshlrev_b64 v[19:20], 4, v[19:20]
	v_addc_co_u32_e32 v55, vcc, v33, v12, vcc
	v_add_co_u32_e32 v26, vcc, v36, v19
	v_addc_co_u32_e32 v28, vcc, v37, v20, vcc
	v_mov_b32_e32 v12, v7
	v_mov_b32_e32 v46, v4
	s_branch .LBB14_214
.LBB14_213:                             ;   in Loop: Header=BB14_214 Depth=3
	v_add_co_u32_e32 v60, vcc, v60, v31
	v_addc_co_u32_e32 v61, vcc, 0, v61, vcc
	v_sub_u32_e32 v12, v12, v31
	v_cmp_gt_i32_e32 vcc, 1, v12
	s_or_b64 s[46:47], vcc, s[46:47]
	v_add_u32_e32 v46, v46, v1
	s_andn2_b64 exec, exec, s[46:47]
	s_cbranch_execz .LBB14_244
.LBB14_214:                             ;   Parent Loop BB14_50 Depth=1
                                        ;     Parent Loop BB14_168 Depth=2
                                        ; =>    This Loop Header: Depth=3
                                        ;         Child Loop BB14_218 Depth 4
	v_ashrrev_i32_e32 v47, 31, v46
	v_lshlrev_b64 v[62:63], 4, v[46:47]
	v_add_co_u32_e32 v29, vcc, v11, v62
	v_addc_co_u32_e32 v30, vcc, v55, v63, vcc
	global_load_dwordx4 v[19:22], v[29:30], off glc slc
	v_cmp_eq_u32_e32 vcc, 0, v8
	s_and_saveexec_b64 s[56:57], vcc
	s_cbranch_execz .LBB14_226
; %bb.215:                              ;   in Loop: Header=BB14_214 Depth=3
	s_waitcnt vmcnt(0)
	v_cmp_ne_u32_e32 vcc, v25, v20
	v_cmp_ne_u32_e64 s[18:19], v25, v22
	s_or_b64 s[18:19], vcc, s[18:19]
	v_mov_b32_e32 v8, 0
	s_and_saveexec_b64 s[58:59], s[18:19]
	s_cbranch_execz .LBB14_225
; %bb.216:                              ;   in Loop: Header=BB14_214 Depth=3
	s_mov_b32 s78, 1
	s_mov_b64 s[62:63], 0
                                        ; implicit-def: $sgpr60_sgpr61
                                        ; implicit-def: $sgpr72_sgpr73
	s_branch .LBB14_218
.LBB14_217:                             ;   in Loop: Header=BB14_218 Depth=4
	s_or_b64 exec, exec, s[76:77]
	s_and_b64 s[18:19], exec, s[18:19]
	s_or_b64 s[62:63], s[18:19], s[62:63]
	s_andn2_b64 s[18:19], s[60:61], exec
	s_and_b64 s[60:61], s[72:73], exec
	s_or_b64 s[60:61], s[18:19], s[60:61]
	s_andn2_b64 exec, exec, s[62:63]
	s_cbranch_execz .LBB14_222
.LBB14_218:                             ;   Parent Loop BB14_50 Depth=1
                                        ;     Parent Loop BB14_168 Depth=2
                                        ;       Parent Loop BB14_214 Depth=3
                                        ; =>      This Inner Loop Header: Depth=4
	global_load_dwordx4 v[19:22], v[29:30], off glc slc
	s_add_i32 s78, s78, 1
	s_mov_b64 s[18:19], -1
	s_cmpk_lg_i32 s78, 0x2710
	s_mov_b64 s[74:75], -1
                                        ; implicit-def: $vgpr47
	s_cbranch_scc0 .LBB14_220
; %bb.219:                              ;   in Loop: Header=BB14_218 Depth=4
	s_or_b64 s[72:73], s[72:73], exec
	s_and_saveexec_b64 s[76:77], s[74:75]
	s_cbranch_execz .LBB14_217
	s_branch .LBB14_221
.LBB14_220:                             ;   in Loop: Header=BB14_218 Depth=4
	s_trap 2
	ds_read_b64 v[8:9], v0
	s_mov_b32 s78, 0
	s_waitcnt vmcnt(0) lgkmcnt(0)
	flat_load_dword v47, v[8:9] glc
	s_waitcnt vmcnt(0) lgkmcnt(0)
	buffer_wbinvl1_vol
	v_cmp_eq_u32_e32 vcc, 0, v47
	s_orn2_b64 s[74:75], vcc, exec
	s_or_b64 s[72:73], s[72:73], exec
	s_and_saveexec_b64 s[76:77], s[74:75]
	s_cbranch_execz .LBB14_217
.LBB14_221:                             ;   in Loop: Header=BB14_218 Depth=4
	s_waitcnt vmcnt(0)
	v_cmp_eq_u32_e32 vcc, v25, v20
	v_cmp_eq_u32_e64 s[18:19], v25, v22
	s_and_b64 s[18:19], vcc, s[18:19]
	s_andn2_b64 s[72:73], s[72:73], exec
	s_orn2_b64 s[18:19], s[18:19], exec
	s_branch .LBB14_217
.LBB14_222:                             ;   in Loop: Header=BB14_214 Depth=3
	s_or_b64 exec, exec, s[62:63]
	v_mov_b32_e32 v8, 0
	s_and_saveexec_b64 s[18:19], s[60:61]
	s_xor_b64 s[18:19], exec, s[18:19]
	s_cbranch_execz .LBB14_224
; %bb.223:                              ;   in Loop: Header=BB14_214 Depth=3
	v_mov_b32_e32 v8, 1
	ds_write_b32 v0, v47
	s_trap 2
.LBB14_224:                             ;   in Loop: Header=BB14_214 Depth=3
	s_or_b64 exec, exec, s[18:19]
.LBB14_225:                             ;   in Loop: Header=BB14_214 Depth=3
	s_or_b64 exec, exec, s[58:59]
.LBB14_226:                             ;   in Loop: Header=BB14_214 Depth=3
	s_or_b64 exec, exec, s[56:57]
	v_add_co_u32_e32 v29, vcc, v26, v62
	v_addc_co_u32_e32 v30, vcc, v28, v63, vcc
	v_cmp_lt_u32_e32 vcc, 7, v12
	s_waitcnt vmcnt(0)
	v_mov_b32_e32 v20, v18
	v_mov_b32_e32 v22, v18
	s_cmp_lg_u64 vcc, exec
	s_mov_b64 s[18:19], -1
	global_store_dwordx4 v[29:30], v[19:22], off
	s_cbranch_scc0 .LBB14_236
; %bb.227:                              ;   in Loop: Header=BB14_214 Depth=3
	v_cmp_ne_u32_e64 s[18:19], 1, v12
	flat_store_byte v[60:61], v19
	s_and_saveexec_b64 s[56:57], s[18:19]
	s_cbranch_execnz .LBB14_238
; %bb.228:                              ;   in Loop: Header=BB14_214 Depth=3
	s_or_b64 exec, exec, s[56:57]
	v_cmp_lt_u32_e64 s[18:19], 2, v12
	s_and_saveexec_b64 s[56:57], s[18:19]
	s_cbranch_execnz .LBB14_239
.LBB14_229:                             ;   in Loop: Header=BB14_214 Depth=3
	s_or_b64 exec, exec, s[56:57]
	v_cmp_lt_u32_e64 s[18:19], 3, v12
	s_and_saveexec_b64 s[56:57], s[18:19]
	s_cbranch_execnz .LBB14_240
.LBB14_230:                             ;   in Loop: Header=BB14_214 Depth=3
	s_or_b64 exec, exec, s[56:57]
	v_cmp_lt_u32_e64 s[18:19], 4, v12
	s_and_saveexec_b64 s[56:57], s[18:19]
	s_cbranch_execnz .LBB14_241
.LBB14_231:                             ;   in Loop: Header=BB14_214 Depth=3
	s_or_b64 exec, exec, s[56:57]
	v_cmp_lt_u32_e64 s[18:19], 5, v12
	s_and_saveexec_b64 s[56:57], s[18:19]
	s_cbranch_execnz .LBB14_242
.LBB14_232:                             ;   in Loop: Header=BB14_214 Depth=3
	s_or_b64 exec, exec, s[56:57]
	v_cmp_lt_u32_e64 s[18:19], 6, v12
	s_and_saveexec_b64 s[56:57], s[18:19]
	s_cbranch_execnz .LBB14_243
.LBB14_233:                             ;   in Loop: Header=BB14_214 Depth=3
	s_or_b64 exec, exec, s[56:57]
	s_and_saveexec_b64 s[18:19], vcc
	s_cbranch_execz .LBB14_235
.LBB14_234:                             ;   in Loop: Header=BB14_214 Depth=3
	v_lshrrev_b32_e32 v9, 24, v21
	flat_store_byte v[60:61], v9 offset:7
.LBB14_235:                             ;   in Loop: Header=BB14_214 Depth=3
	s_or_b64 exec, exec, s[18:19]
	s_mov_b64 s[18:19], 0
.LBB14_236:                             ;   in Loop: Header=BB14_214 Depth=3
	s_and_b64 vcc, exec, s[18:19]
	s_cbranch_vccz .LBB14_213
; %bb.237:                              ;   in Loop: Header=BB14_214 Depth=3
	v_mov_b32_e32 v20, v21
	global_store_dwordx2 v[60:61], v[19:20], off
	s_branch .LBB14_213
.LBB14_238:                             ;   in Loop: Header=BB14_214 Depth=3
	v_lshrrev_b32_e32 v9, 8, v19
	flat_store_byte v[60:61], v9 offset:1
	s_or_b64 exec, exec, s[56:57]
	v_cmp_lt_u32_e64 s[18:19], 2, v12
	s_and_saveexec_b64 s[56:57], s[18:19]
	s_cbranch_execz .LBB14_229
.LBB14_239:                             ;   in Loop: Header=BB14_214 Depth=3
	flat_store_byte_d16_hi v[60:61], v19 offset:2
	s_or_b64 exec, exec, s[56:57]
	v_cmp_lt_u32_e64 s[18:19], 3, v12
	s_and_saveexec_b64 s[56:57], s[18:19]
	s_cbranch_execz .LBB14_230
.LBB14_240:                             ;   in Loop: Header=BB14_214 Depth=3
	v_lshrrev_b32_e32 v9, 24, v19
	flat_store_byte v[60:61], v9 offset:3
	s_or_b64 exec, exec, s[56:57]
	v_cmp_lt_u32_e64 s[18:19], 4, v12
	s_and_saveexec_b64 s[56:57], s[18:19]
	s_cbranch_execz .LBB14_231
.LBB14_241:                             ;   in Loop: Header=BB14_214 Depth=3
	flat_store_byte v[60:61], v21 offset:4
	s_or_b64 exec, exec, s[56:57]
	v_cmp_lt_u32_e64 s[18:19], 5, v12
	s_and_saveexec_b64 s[56:57], s[18:19]
	s_cbranch_execz .LBB14_232
.LBB14_242:                             ;   in Loop: Header=BB14_214 Depth=3
	v_lshrrev_b32_e32 v9, 8, v21
	flat_store_byte v[60:61], v9 offset:5
	s_or_b64 exec, exec, s[56:57]
	v_cmp_lt_u32_e64 s[18:19], 6, v12
	s_and_saveexec_b64 s[56:57], s[18:19]
	s_cbranch_execz .LBB14_233
.LBB14_243:                             ;   in Loop: Header=BB14_214 Depth=3
	flat_store_byte_d16_hi v[60:61], v21 offset:6
	s_or_b64 exec, exec, s[56:57]
	s_and_saveexec_b64 s[18:19], vcc
	s_cbranch_execnz .LBB14_234
	s_branch .LBB14_235
.LBB14_244:                             ;   in Loop: Header=BB14_168 Depth=2
	s_or_b64 exec, exec, s[46:47]
	s_or_b64 exec, exec, s[44:45]
	s_and_saveexec_b64 s[18:19], s[10:11]
	s_cbranch_execz .LBB14_205
.LBB14_245:                             ;   in Loop: Header=BB14_168 Depth=2
	s_and_saveexec_b64 s[44:45], s[28:29]
	s_xor_b64 s[44:45], exec, s[44:45]
	s_cbranch_execz .LBB14_260
; %bb.246:                              ;   in Loop: Header=BB14_168 Depth=2
	s_and_saveexec_b64 s[46:47], s[12:13]
	s_cbranch_execz .LBB14_259
; %bb.247:                              ;   in Loop: Header=BB14_168 Depth=2
	s_mov_b64 s[58:59], exec
	v_mbcnt_lo_u32_b32 v9, s58, 0
	v_mbcnt_hi_u32_b32 v9, s59, v9
	v_cmp_eq_u32_e32 vcc, 0, v9
	s_waitcnt vmcnt(0) lgkmcnt(0)
	buffer_wbinvl1_vol
	s_and_saveexec_b64 s[56:57], vcc
	s_cbranch_execz .LBB14_249
; %bb.248:                              ;   in Loop: Header=BB14_168 Depth=2
	s_bcnt1_i32_b64 s58, s[58:59]
	v_mov_b32_e32 v11, s58
	v_mov_b32_e32 v12, v17
	ds_add_u64 v0, v[11:12]
	s_trap 2
.LBB14_249:                             ;   in Loop: Header=BB14_168 Depth=2
	s_or_b64 exec, exec, s[56:57]
	s_trap 2
	ds_read_b64 v[11:12], v0
	s_waitcnt lgkmcnt(0)
	buffer_load_dword v9, off, s[0:3], s32 offset:68 ; 4-byte Folded Reload
	s_waitcnt vmcnt(0)
	v_add_co_u32_e32 v2, vcc, v2, v9
	v_addc_co_u32_e32 v3, vcc, 0, v3, vcc
	v_cmp_lt_u64_e32 vcc, v[11:12], v[2:3]
	s_and_saveexec_b64 s[56:57], vcc
	s_cbranch_execz .LBB14_258
; %bb.250:                              ;   in Loop: Header=BB14_168 Depth=2
	s_mov_b32 s78, 0
	s_mov_b64 s[58:59], 0
                                        ; implicit-def: $sgpr60_sgpr61
                                        ; implicit-def: $sgpr62_sgpr63
	s_branch .LBB14_252
.LBB14_251:                             ;   in Loop: Header=BB14_252 Depth=3
	s_or_b64 exec, exec, s[74:75]
	s_and_b64 s[72:73], exec, s[76:77]
	s_or_b64 s[58:59], s[72:73], s[58:59]
	s_andn2_b64 s[60:61], s[60:61], exec
	s_and_b64 s[72:73], s[62:63], exec
	s_or_b64 s[60:61], s[60:61], s[72:73]
	s_andn2_b64 exec, exec, s[58:59]
	s_cbranch_execz .LBB14_256
.LBB14_252:                             ;   Parent Loop BB14_50 Depth=1
                                        ;     Parent Loop BB14_168 Depth=2
                                        ; =>    This Inner Loop Header: Depth=3
	s_add_i32 s78, s78, 1
	s_cmpk_lg_i32 s78, 0x2710
	s_cselect_b64 s[72:73], -1, 0
	s_and_b64 vcc, exec, s[72:73]
	s_cbranch_vccz .LBB14_254
; %bb.253:                              ;   in Loop: Header=BB14_252 Depth=3
	s_mov_b64 s[76:77], -1
	s_or_b64 s[62:63], s[62:63], exec
	s_and_saveexec_b64 s[74:75], s[72:73]
	s_cbranch_execz .LBB14_251
	s_branch .LBB14_255
.LBB14_254:                             ;   in Loop: Header=BB14_252 Depth=3
	s_trap 2
	ds_read_b64 v[11:12], v0
	s_andn2_b64 s[72:73], s[72:73], exec
	s_mov_b32 s78, 0
	s_waitcnt lgkmcnt(0)
	flat_load_dword v9, v[11:12] glc
	s_waitcnt vmcnt(0) lgkmcnt(0)
	buffer_wbinvl1_vol
	v_cmp_eq_u32_e32 vcc, 0, v9
	s_and_b64 s[74:75], vcc, exec
	s_or_b64 s[72:73], s[72:73], s[74:75]
	s_mov_b64 s[76:77], -1
	s_or_b64 s[62:63], s[62:63], exec
	s_and_saveexec_b64 s[74:75], s[72:73]
	s_cbranch_execz .LBB14_251
.LBB14_255:                             ;   in Loop: Header=BB14_252 Depth=3
	s_sleep 1
	s_trap 2
	ds_read_b64 v[11:12], v0
	s_waitcnt lgkmcnt(0)
	s_andn2_b64 s[62:63], s[62:63], exec
	v_cmp_ge_u64_e32 vcc, v[11:12], v[2:3]
	s_orn2_b64 s[76:77], vcc, exec
	s_branch .LBB14_251
.LBB14_256:                             ;   in Loop: Header=BB14_168 Depth=2
	s_or_b64 exec, exec, s[58:59]
	s_and_saveexec_b64 s[58:59], s[60:61]
	s_xor_b64 s[58:59], exec, s[58:59]
	s_cbranch_execz .LBB14_258
; %bb.257:                              ;   in Loop: Header=BB14_168 Depth=2
	v_mov_b32_e32 v9, 1
	ds_write_b32 v0, v9
	s_trap 2
.LBB14_258:                             ;   in Loop: Header=BB14_168 Depth=2
	s_or_b64 exec, exec, s[56:57]
	;;#ASMSTART
	s_wakeup
	;;#ASMEND
.LBB14_259:                             ;   in Loop: Header=BB14_168 Depth=2
	s_or_b64 exec, exec, s[46:47]
.LBB14_260:                             ;   in Loop: Header=BB14_168 Depth=2
	s_andn2_saveexec_b64 s[44:45], s[44:45]
	s_cbranch_execz .LBB14_262
; %bb.261:                              ;   in Loop: Header=BB14_168 Depth=2
	s_waitcnt vmcnt(0) lgkmcnt(0)
	buffer_wbinvl1_vol
	s_barrier
.LBB14_262:                             ;   in Loop: Header=BB14_168 Depth=2
	s_or_b64 exec, exec, s[44:45]
	s_or_b64 exec, exec, s[18:19]
	s_and_saveexec_b64 s[18:19], s[14:15]
	s_cbranch_execnz .LBB14_206
	s_branch .LBB14_207
.LBB14_263:                             ;   in Loop: Header=BB14_50 Depth=1
	v_mov_b32_e32 v46, v56
	v_mov_b32_e32 v47, v57
	;; [unrolled: 1-line block ×3, first 2 shown]
	v_cmp_lt_i32_e32 vcc, 0, v7
	s_and_saveexec_b64 s[18:19], vcc
	s_cbranch_execnz .LBB14_265
	s_branch .LBB14_298
.LBB14_264:                             ;   in Loop: Header=BB14_50 Depth=1
	buffer_load_dword v9, off, s[0:3], s32 offset:92 ; 4-byte Folded Reload
	buffer_load_dword v10, off, s[0:3], s32 offset:96 ; 4-byte Folded Reload
	buffer_load_dword v11, off, s[0:3], s32 offset:100 ; 4-byte Folded Reload
	buffer_load_dword v12, off, s[0:3], s32 offset:104 ; 4-byte Folded Reload
	v_mov_b32_e32 v46, v56
	v_mov_b32_e32 v47, v57
	s_waitcnt vmcnt(0)
	v_mov_b32_e32 v29, v12
	v_mov_b32_e32 v28, v11
	v_cmp_lt_i32_e32 vcc, 0, v7
	s_and_saveexec_b64 s[18:19], vcc
	s_cbranch_execz .LBB14_298
.LBB14_265:                             ;   in Loop: Header=BB14_50 Depth=1
	flat_load_dword v11, v[23:24] offset:4
	s_mov_b64 s[44:45], 0
	v_mov_b32_e32 v56, v4
	s_waitcnt vmcnt(0) lgkmcnt(0)
	v_ashrrev_i32_e32 v12, 31, v11
	v_mad_u64_u32 v[9:10], s[16:17], v0, v11, v[44:45]
	v_mul_lo_u32 v11, v27, v11
	v_mul_lo_u32 v12, v0, v12
	v_add3_u32 v10, v11, v10, v12
	v_lshlrev_b32_e32 v11, 3, v4
	v_add_co_u32_e32 v44, vcc, v9, v11
	buffer_load_dword v9, off, s[0:3], s32 offset:140 ; 4-byte Folded Reload
	v_add_u32_e32 v11, 1, v34
	s_waitcnt vmcnt(0)
	v_addc_co_u32_e32 v45, vcc, v10, v9, vcc
	v_and_b32_e32 v9, 7, v34
	v_mul_lo_u32 v9, v9, v54
	v_ashrrev_i32_e32 v10, 31, v9
	v_lshlrev_b64 v[9:10], 4, v[9:10]
	v_add_co_u32_e32 v9, vcc, v32, v9
	v_addc_co_u32_e32 v10, vcc, v33, v10, vcc
	s_branch .LBB14_267
.LBB14_266:                             ;   in Loop: Header=BB14_267 Depth=2
	v_add_co_u32_e32 v44, vcc, v44, v31
	v_addc_co_u32_e32 v45, vcc, 0, v45, vcc
	v_sub_u32_e32 v7, v7, v31
	v_cmp_gt_i32_e32 vcc, 1, v7
	s_or_b64 s[44:45], vcc, s[44:45]
	v_add_u32_e32 v56, v56, v1
	s_andn2_b64 exec, exec, s[44:45]
	s_cbranch_execz .LBB14_297
.LBB14_267:                             ;   Parent Loop BB14_50 Depth=1
                                        ; =>  This Loop Header: Depth=2
                                        ;       Child Loop BB14_271 Depth 3
	v_ashrrev_i32_e32 v57, 31, v56
	s_waitcnt vmcnt(0)
	v_lshlrev_b64 v[18:19], 4, v[56:57]
	v_add_co_u32_e32 v57, vcc, v9, v18
	v_addc_co_u32_e32 v58, vcc, v10, v19, vcc
	global_load_dwordx4 v[18:21], v[57:58], off glc slc
	v_cmp_eq_u32_e32 vcc, 0, v8
	s_and_saveexec_b64 s[46:47], vcc
	s_cbranch_execz .LBB14_279
; %bb.268:                              ;   in Loop: Header=BB14_267 Depth=2
	s_waitcnt vmcnt(0)
	v_cmp_ne_u32_e32 vcc, v11, v19
	v_cmp_ne_u32_e64 s[16:17], v11, v21
	s_or_b64 s[16:17], vcc, s[16:17]
	v_mov_b32_e32 v8, 0
	s_and_saveexec_b64 s[56:57], s[16:17]
	s_cbranch_execz .LBB14_278
; %bb.269:                              ;   in Loop: Header=BB14_267 Depth=2
	s_mov_b32 s76, 1
	s_mov_b64 s[60:61], 0
                                        ; implicit-def: $sgpr58_sgpr59
                                        ; implicit-def: $sgpr62_sgpr63
	s_branch .LBB14_271
.LBB14_270:                             ;   in Loop: Header=BB14_271 Depth=3
	s_or_b64 exec, exec, s[74:75]
	s_and_b64 s[16:17], exec, s[16:17]
	s_or_b64 s[60:61], s[16:17], s[60:61]
	s_andn2_b64 s[16:17], s[58:59], exec
	s_and_b64 s[58:59], s[62:63], exec
	s_or_b64 s[58:59], s[16:17], s[58:59]
	s_andn2_b64 exec, exec, s[60:61]
	s_cbranch_execz .LBB14_275
.LBB14_271:                             ;   Parent Loop BB14_50 Depth=1
                                        ;     Parent Loop BB14_267 Depth=2
                                        ; =>    This Inner Loop Header: Depth=3
	global_load_dwordx4 v[18:21], v[57:58], off glc slc
	s_add_i32 s76, s76, 1
	s_mov_b64 s[16:17], -1
	s_cmpk_lg_i32 s76, 0x2710
	s_mov_b64 s[72:73], -1
                                        ; implicit-def: $vgpr12
	s_cbranch_scc0 .LBB14_273
; %bb.272:                              ;   in Loop: Header=BB14_271 Depth=3
	s_or_b64 s[62:63], s[62:63], exec
	s_and_saveexec_b64 s[74:75], s[72:73]
	s_cbranch_execz .LBB14_270
	s_branch .LBB14_274
.LBB14_273:                             ;   in Loop: Header=BB14_271 Depth=3
	s_trap 2
	ds_read_b64 v[25:26], v0
	s_mov_b32 s76, 0
	s_waitcnt vmcnt(0) lgkmcnt(0)
	flat_load_dword v12, v[25:26] glc
	s_waitcnt vmcnt(0) lgkmcnt(0)
	buffer_wbinvl1_vol
	v_cmp_eq_u32_e32 vcc, 0, v12
	s_orn2_b64 s[72:73], vcc, exec
	s_or_b64 s[62:63], s[62:63], exec
	s_and_saveexec_b64 s[74:75], s[72:73]
	s_cbranch_execz .LBB14_270
.LBB14_274:                             ;   in Loop: Header=BB14_271 Depth=3
	s_waitcnt vmcnt(0)
	v_cmp_eq_u32_e32 vcc, v11, v19
	v_cmp_eq_u32_e64 s[16:17], v11, v21
	s_and_b64 s[16:17], vcc, s[16:17]
	s_andn2_b64 s[62:63], s[62:63], exec
	s_orn2_b64 s[16:17], s[16:17], exec
	s_branch .LBB14_270
.LBB14_275:                             ;   in Loop: Header=BB14_267 Depth=2
	s_or_b64 exec, exec, s[60:61]
	v_mov_b32_e32 v8, 0
	s_and_saveexec_b64 s[16:17], s[58:59]
	s_xor_b64 s[16:17], exec, s[16:17]
	s_cbranch_execz .LBB14_277
; %bb.276:                              ;   in Loop: Header=BB14_267 Depth=2
	v_mov_b32_e32 v8, 1
	ds_write_b32 v0, v12
	s_trap 2
.LBB14_277:                             ;   in Loop: Header=BB14_267 Depth=2
	s_or_b64 exec, exec, s[16:17]
.LBB14_278:                             ;   in Loop: Header=BB14_267 Depth=2
	s_or_b64 exec, exec, s[56:57]
.LBB14_279:                             ;   in Loop: Header=BB14_267 Depth=2
	s_or_b64 exec, exec, s[46:47]
	v_cmp_lt_u32_e32 vcc, 7, v7
	s_cmp_lg_u64 vcc, exec
	s_mov_b64 s[16:17], -1
	s_cbranch_scc0 .LBB14_289
; %bb.280:                              ;   in Loop: Header=BB14_267 Depth=2
	v_cmp_ne_u32_e64 s[16:17], 1, v7
	s_waitcnt vmcnt(0)
	flat_store_byte v[44:45], v18
	s_and_saveexec_b64 s[46:47], s[16:17]
	s_cbranch_execnz .LBB14_291
; %bb.281:                              ;   in Loop: Header=BB14_267 Depth=2
	s_or_b64 exec, exec, s[46:47]
	v_cmp_lt_u32_e64 s[16:17], 2, v7
	s_and_saveexec_b64 s[46:47], s[16:17]
	s_cbranch_execnz .LBB14_292
.LBB14_282:                             ;   in Loop: Header=BB14_267 Depth=2
	s_or_b64 exec, exec, s[46:47]
	v_cmp_lt_u32_e64 s[16:17], 3, v7
	s_and_saveexec_b64 s[46:47], s[16:17]
	s_cbranch_execnz .LBB14_293
.LBB14_283:                             ;   in Loop: Header=BB14_267 Depth=2
	s_or_b64 exec, exec, s[46:47]
	v_cmp_lt_u32_e64 s[16:17], 4, v7
	s_and_saveexec_b64 s[46:47], s[16:17]
	s_cbranch_execnz .LBB14_294
.LBB14_284:                             ;   in Loop: Header=BB14_267 Depth=2
	s_or_b64 exec, exec, s[46:47]
	v_cmp_lt_u32_e64 s[16:17], 5, v7
	s_and_saveexec_b64 s[46:47], s[16:17]
	s_cbranch_execnz .LBB14_295
.LBB14_285:                             ;   in Loop: Header=BB14_267 Depth=2
	s_or_b64 exec, exec, s[46:47]
	v_cmp_lt_u32_e64 s[16:17], 6, v7
	s_and_saveexec_b64 s[46:47], s[16:17]
	s_cbranch_execnz .LBB14_296
.LBB14_286:                             ;   in Loop: Header=BB14_267 Depth=2
	s_or_b64 exec, exec, s[46:47]
	s_and_saveexec_b64 s[16:17], vcc
	s_cbranch_execz .LBB14_288
.LBB14_287:                             ;   in Loop: Header=BB14_267 Depth=2
	v_lshrrev_b32_e32 v12, 24, v20
	flat_store_byte v[44:45], v12 offset:7
.LBB14_288:                             ;   in Loop: Header=BB14_267 Depth=2
	s_or_b64 exec, exec, s[16:17]
	s_mov_b64 s[16:17], 0
.LBB14_289:                             ;   in Loop: Header=BB14_267 Depth=2
	s_and_b64 vcc, exec, s[16:17]
	s_cbranch_vccz .LBB14_266
; %bb.290:                              ;   in Loop: Header=BB14_267 Depth=2
	s_waitcnt vmcnt(0)
	v_mov_b32_e32 v19, v20
	global_store_dwordx2 v[44:45], v[18:19], off
	s_branch .LBB14_266
.LBB14_291:                             ;   in Loop: Header=BB14_267 Depth=2
	v_lshrrev_b32_e32 v12, 8, v18
	flat_store_byte v[44:45], v12 offset:1
	s_or_b64 exec, exec, s[46:47]
	v_cmp_lt_u32_e64 s[16:17], 2, v7
	s_and_saveexec_b64 s[46:47], s[16:17]
	s_cbranch_execz .LBB14_282
.LBB14_292:                             ;   in Loop: Header=BB14_267 Depth=2
	flat_store_byte_d16_hi v[44:45], v18 offset:2
	s_or_b64 exec, exec, s[46:47]
	v_cmp_lt_u32_e64 s[16:17], 3, v7
	s_and_saveexec_b64 s[46:47], s[16:17]
	s_cbranch_execz .LBB14_283
.LBB14_293:                             ;   in Loop: Header=BB14_267 Depth=2
	v_lshrrev_b32_e32 v12, 24, v18
	flat_store_byte v[44:45], v12 offset:3
	s_or_b64 exec, exec, s[46:47]
	v_cmp_lt_u32_e64 s[16:17], 4, v7
	s_and_saveexec_b64 s[46:47], s[16:17]
	s_cbranch_execz .LBB14_284
.LBB14_294:                             ;   in Loop: Header=BB14_267 Depth=2
	flat_store_byte v[44:45], v20 offset:4
	s_or_b64 exec, exec, s[46:47]
	v_cmp_lt_u32_e64 s[16:17], 5, v7
	s_and_saveexec_b64 s[46:47], s[16:17]
	s_cbranch_execz .LBB14_285
.LBB14_295:                             ;   in Loop: Header=BB14_267 Depth=2
	v_lshrrev_b32_e32 v12, 8, v20
	flat_store_byte v[44:45], v12 offset:5
	s_or_b64 exec, exec, s[46:47]
	v_cmp_lt_u32_e64 s[16:17], 6, v7
	s_and_saveexec_b64 s[46:47], s[16:17]
	s_cbranch_execz .LBB14_286
.LBB14_296:                             ;   in Loop: Header=BB14_267 Depth=2
	flat_store_byte_d16_hi v[44:45], v20 offset:6
	s_or_b64 exec, exec, s[46:47]
	s_and_saveexec_b64 s[16:17], vcc
	s_cbranch_execnz .LBB14_287
	s_branch .LBB14_288
.LBB14_297:                             ;   in Loop: Header=BB14_50 Depth=1
	s_or_b64 exec, exec, s[44:45]
.LBB14_298:                             ;   in Loop: Header=BB14_50 Depth=1
	s_or_b64 exec, exec, s[18:19]
	s_and_saveexec_b64 s[16:17], s[10:11]
	s_cbranch_execnz .LBB14_300
; %bb.299:                              ;   in Loop: Header=BB14_50 Depth=1
	s_or_b64 exec, exec, s[16:17]
	s_and_saveexec_b64 s[16:17], s[14:15]
	s_cbranch_execz .LBB14_49
	s_branch .LBB14_318
.LBB14_300:                             ;   in Loop: Header=BB14_50 Depth=1
	s_and_saveexec_b64 s[18:19], s[28:29]
	s_xor_b64 s[18:19], exec, s[18:19]
	s_cbranch_execz .LBB14_315
; %bb.301:                              ;   in Loop: Header=BB14_50 Depth=1
	s_and_saveexec_b64 s[44:45], s[12:13]
	s_cbranch_execz .LBB14_314
; %bb.302:                              ;   in Loop: Header=BB14_50 Depth=1
	s_mov_b64 s[56:57], exec
	v_mbcnt_lo_u32_b32 v7, s56, 0
	v_mbcnt_hi_u32_b32 v7, s57, v7
	v_cmp_eq_u32_e32 vcc, 0, v7
	s_waitcnt vmcnt(0) lgkmcnt(0)
	buffer_wbinvl1_vol
	s_and_saveexec_b64 s[46:47], vcc
	s_cbranch_execz .LBB14_304
; %bb.303:                              ;   in Loop: Header=BB14_50 Depth=1
	s_bcnt1_i32_b64 s56, s[56:57]
	v_mov_b32_e32 v9, s56
	v_mov_b32_e32 v10, v17
	ds_add_u64 v0, v[9:10]
	s_trap 2
.LBB14_304:                             ;   in Loop: Header=BB14_50 Depth=1
	s_or_b64 exec, exec, s[46:47]
	s_trap 2
	ds_read_b64 v[9:10], v0
	s_waitcnt lgkmcnt(0)
	buffer_load_dword v7, off, s[0:3], s32 offset:68 ; 4-byte Folded Reload
	s_waitcnt vmcnt(0)
	v_add_co_u32_e32 v2, vcc, v2, v7
	v_addc_co_u32_e32 v3, vcc, 0, v3, vcc
	v_cmp_lt_u64_e32 vcc, v[9:10], v[2:3]
	s_and_saveexec_b64 s[46:47], vcc
	s_cbranch_execz .LBB14_313
; %bb.305:                              ;   in Loop: Header=BB14_50 Depth=1
	s_mov_b32 s76, 0
	s_mov_b64 s[56:57], 0
                                        ; implicit-def: $sgpr58_sgpr59
                                        ; implicit-def: $sgpr60_sgpr61
	s_branch .LBB14_307
.LBB14_306:                             ;   in Loop: Header=BB14_307 Depth=2
	s_or_b64 exec, exec, s[72:73]
	s_and_b64 s[62:63], exec, s[74:75]
	s_or_b64 s[56:57], s[62:63], s[56:57]
	s_andn2_b64 s[58:59], s[58:59], exec
	s_and_b64 s[62:63], s[60:61], exec
	s_or_b64 s[58:59], s[58:59], s[62:63]
	s_andn2_b64 exec, exec, s[56:57]
	s_cbranch_execz .LBB14_311
.LBB14_307:                             ;   Parent Loop BB14_50 Depth=1
                                        ; =>  This Inner Loop Header: Depth=2
	s_add_i32 s76, s76, 1
	s_cmpk_lg_i32 s76, 0x2710
	s_cselect_b64 s[62:63], -1, 0
	s_and_b64 vcc, exec, s[62:63]
	s_cbranch_vccz .LBB14_309
; %bb.308:                              ;   in Loop: Header=BB14_307 Depth=2
	s_mov_b64 s[74:75], -1
	s_or_b64 s[60:61], s[60:61], exec
	s_and_saveexec_b64 s[72:73], s[62:63]
	s_cbranch_execz .LBB14_306
	s_branch .LBB14_310
.LBB14_309:                             ;   in Loop: Header=BB14_307 Depth=2
	s_trap 2
	ds_read_b64 v[9:10], v0
	s_andn2_b64 s[62:63], s[62:63], exec
	s_mov_b32 s76, 0
	s_waitcnt lgkmcnt(0)
	flat_load_dword v7, v[9:10] glc
	s_waitcnt vmcnt(0) lgkmcnt(0)
	buffer_wbinvl1_vol
	v_cmp_eq_u32_e32 vcc, 0, v7
	s_and_b64 s[72:73], vcc, exec
	s_or_b64 s[62:63], s[62:63], s[72:73]
	s_mov_b64 s[74:75], -1
	s_or_b64 s[60:61], s[60:61], exec
	s_and_saveexec_b64 s[72:73], s[62:63]
	s_cbranch_execz .LBB14_306
.LBB14_310:                             ;   in Loop: Header=BB14_307 Depth=2
	s_sleep 1
	s_trap 2
	ds_read_b64 v[9:10], v0
	s_waitcnt lgkmcnt(0)
	s_andn2_b64 s[60:61], s[60:61], exec
	v_cmp_ge_u64_e32 vcc, v[9:10], v[2:3]
	s_orn2_b64 s[74:75], vcc, exec
	s_branch .LBB14_306
.LBB14_311:                             ;   in Loop: Header=BB14_50 Depth=1
	s_or_b64 exec, exec, s[56:57]
	s_and_saveexec_b64 s[56:57], s[58:59]
	s_xor_b64 s[56:57], exec, s[56:57]
	s_cbranch_execz .LBB14_313
; %bb.312:                              ;   in Loop: Header=BB14_50 Depth=1
	v_mov_b32_e32 v7, 1
	ds_write_b32 v0, v7
	s_trap 2
.LBB14_313:                             ;   in Loop: Header=BB14_50 Depth=1
	s_or_b64 exec, exec, s[46:47]
	;;#ASMSTART
	s_wakeup
	;;#ASMEND
.LBB14_314:                             ;   in Loop: Header=BB14_50 Depth=1
	s_or_b64 exec, exec, s[44:45]
.LBB14_315:                             ;   in Loop: Header=BB14_50 Depth=1
	s_andn2_saveexec_b64 s[18:19], s[18:19]
	s_cbranch_execz .LBB14_317
; %bb.316:                              ;   in Loop: Header=BB14_50 Depth=1
	s_waitcnt vmcnt(0) lgkmcnt(0)
	buffer_wbinvl1_vol
	s_barrier
.LBB14_317:                             ;   in Loop: Header=BB14_50 Depth=1
	s_or_b64 exec, exec, s[18:19]
	s_or_b64 exec, exec, s[16:17]
	s_and_saveexec_b64 s[16:17], s[14:15]
	s_cbranch_execz .LBB14_49
.LBB14_318:                             ;   in Loop: Header=BB14_50 Depth=1
	v_add_co_u32_e32 v38, vcc, 1, v38
	v_addc_co_u32_e32 v39, vcc, 0, v39, vcc
	flat_store_dwordx2 v[48:49], v[38:39]
	s_branch .LBB14_49
.LBB14_319:
	s_or_b64 exec, exec, s[26:27]
	buffer_load_dword v31, off, s[0:3], s32 offset:164 ; 4-byte Folded Reload
	buffer_load_dword v10, off, s[0:3], s32 offset:168 ; 4-byte Folded Reload
	;; [unrolled: 1-line block ×5, first 2 shown]
	s_or_b64 exec, exec, s[24:25]
	s_and_saveexec_b64 s[6:7], s[22:23]
	s_cbranch_execz .LBB14_46
.LBB14_320:
	s_waitcnt vmcnt(0) lgkmcnt(0)
	flat_store_dwordx2 v[20:21], v[38:39] offset:104
	s_or_b64 exec, exec, s[6:7]
	s_and_saveexec_b64 s[6:7], s[4:5]
	s_cbranch_execz .LBB14_47
.LBB14_321:
	s_waitcnt vmcnt(0) lgkmcnt(0)
	flat_store_dwordx2 v[10:11], v[15:16] offset:104
	s_or_b64 exec, exec, s[6:7]
	v_cmp_ne_u32_e32 vcc, 64, v1
	s_and_saveexec_b64 s[4:5], vcc
	s_cbranch_execz .LBB14_339
.LBB14_322:
	buffer_load_dword v0, off, s[0:3], s32 offset:160 ; 4-byte Folded Reload
	s_waitcnt vmcnt(0)
	v_cmp_ne_u32_sdwa s[6:7], v1, v0 src0_sel:DWORD src1_sel:WORD_0
	s_and_saveexec_b64 s[8:9], s[6:7]
	s_xor_b64 s[6:7], exec, s[8:9]
	s_cbranch_execz .LBB14_337
; %bb.323:
	v_and_b32_e32 v0, 63, v31
	v_cmp_eq_u32_e32 vcc, 0, v0
	s_and_saveexec_b64 s[8:9], vcc
	s_cbranch_execz .LBB14_336
; %bb.324:
	s_mov_b64 s[12:13], exec
	v_mbcnt_lo_u32_b32 v0, s12, 0
	v_mbcnt_hi_u32_b32 v0, s13, v0
	v_cmp_eq_u32_e32 vcc, 0, v0
	s_waitcnt lgkmcnt(0)
	buffer_wbinvl1_vol
	s_and_saveexec_b64 s[10:11], vcc
	s_cbranch_execz .LBB14_326
; %bb.325:
	s_bcnt1_i32_b64 s12, s[12:13]
	v_mov_b32_e32 v4, s12
	v_mov_b32_e32 v5, 0
	ds_add_u64 v0, v[4:5]
	s_trap 2
.LBB14_326:
	s_or_b64 exec, exec, s[10:11]
	v_lshrrev_b32_e32 v0, 6, v1
	s_trap 2
	ds_read_b64 v[4:5], v0
	s_waitcnt lgkmcnt(0)
	v_add_co_u32_e32 v0, vcc, v2, v0
	v_addc_co_u32_e32 v1, vcc, 0, v3, vcc
	v_cmp_lt_u64_e32 vcc, v[4:5], v[0:1]
	s_and_saveexec_b64 s[10:11], vcc
	s_cbranch_execz .LBB14_335
; %bb.327:
	s_mov_b32 s26, 0
	s_mov_b64 s[12:13], 0
                                        ; implicit-def: $sgpr14_sgpr15
                                        ; implicit-def: $sgpr16_sgpr17
	s_branch .LBB14_329
.LBB14_328:                             ;   in Loop: Header=BB14_329 Depth=1
	s_or_b64 exec, exec, s[22:23]
	s_and_b64 s[18:19], exec, s[24:25]
	s_or_b64 s[12:13], s[18:19], s[12:13]
	s_andn2_b64 s[14:15], s[14:15], exec
	s_and_b64 s[18:19], s[16:17], exec
	s_or_b64 s[14:15], s[14:15], s[18:19]
	s_andn2_b64 exec, exec, s[12:13]
	s_cbranch_execz .LBB14_333
.LBB14_329:                             ; =>This Inner Loop Header: Depth=1
	s_add_i32 s26, s26, 1
	s_cmpk_lg_i32 s26, 0x2710
	s_cselect_b64 s[18:19], -1, 0
	s_and_b64 vcc, exec, s[18:19]
	s_cbranch_vccz .LBB14_331
; %bb.330:                              ;   in Loop: Header=BB14_329 Depth=1
	s_mov_b64 s[24:25], -1
	s_or_b64 s[16:17], s[16:17], exec
	s_and_saveexec_b64 s[22:23], s[18:19]
	s_cbranch_execz .LBB14_328
	s_branch .LBB14_332
.LBB14_331:                             ;   in Loop: Header=BB14_329 Depth=1
	s_trap 2
	ds_read_b64 v[2:3], v0
	s_andn2_b64 s[18:19], s[18:19], exec
	s_mov_b32 s26, 0
	s_waitcnt lgkmcnt(0)
	flat_load_dword v2, v[2:3] glc
	s_waitcnt vmcnt(0) lgkmcnt(0)
	buffer_wbinvl1_vol
	v_cmp_eq_u32_e32 vcc, 0, v2
	s_and_b64 s[22:23], vcc, exec
	s_or_b64 s[18:19], s[18:19], s[22:23]
	s_mov_b64 s[24:25], -1
	s_or_b64 s[16:17], s[16:17], exec
	s_and_saveexec_b64 s[22:23], s[18:19]
	s_cbranch_execz .LBB14_328
.LBB14_332:                             ;   in Loop: Header=BB14_329 Depth=1
	s_sleep 1
	s_trap 2
	ds_read_b64 v[2:3], v0
	s_waitcnt lgkmcnt(0)
	s_andn2_b64 s[16:17], s[16:17], exec
	v_cmp_ge_u64_e32 vcc, v[2:3], v[0:1]
	s_orn2_b64 s[24:25], vcc, exec
	s_branch .LBB14_328
.LBB14_333:
	s_or_b64 exec, exec, s[12:13]
	s_and_saveexec_b64 s[12:13], s[14:15]
	s_xor_b64 s[12:13], exec, s[12:13]
	s_cbranch_execz .LBB14_335
; %bb.334:
	v_mov_b32_e32 v0, 1
	ds_write_b32 v0, v0
	s_trap 2
.LBB14_335:
	s_or_b64 exec, exec, s[10:11]
	;;#ASMSTART
	s_wakeup
	;;#ASMEND
.LBB14_336:
	s_or_b64 exec, exec, s[8:9]
.LBB14_337:
	s_andn2_saveexec_b64 s[6:7], s[6:7]
	s_cbranch_execz .LBB14_339
; %bb.338:
	s_waitcnt lgkmcnt(0)
	buffer_wbinvl1_vol
	s_barrier
.LBB14_339:
	s_or_b64 exec, exec, s[4:5]
.LBB14_340:
	s_or_b64 exec, exec, s[20:21]
	buffer_load_dword v63, off, s[0:3], s32 ; 4-byte Folded Reload
	buffer_load_dword v62, off, s[0:3], s32 offset:4 ; 4-byte Folded Reload
	buffer_load_dword v61, off, s[0:3], s32 offset:8 ; 4-byte Folded Reload
	;; [unrolled: 1-line block ×7, first 2 shown]
	s_waitcnt lgkmcnt(0)
	buffer_load_dword v47, off, s[0:3], s32 offset:32 ; 4-byte Folded Reload
	buffer_load_dword v46, off, s[0:3], s32 offset:36 ; 4-byte Folded Reload
	;; [unrolled: 1-line block ×8, first 2 shown]
	s_waitcnt vmcnt(0)
	s_setpc_b64 s[30:31]
.Lfunc_end14:
	.size	_ZN12_GLOBAL__N_17runRingIa7FuncSumIaE7ProtoLLLi0ELi4ELi0ELb0EEEviiP15ncclDevWorkColl, .Lfunc_end14-_ZN12_GLOBAL__N_17runRingIa7FuncSumIaE7ProtoLLLi0ELi4ELi0ELb0EEEviiP15ncclDevWorkColl
                                        ; -- End function
	.set .L_ZN12_GLOBAL__N_17runRingIa7FuncSumIaE7ProtoLLLi0ELi4ELi0ELb0EEEviiP15ncclDevWorkColl.num_vgpr, 64
	.set .L_ZN12_GLOBAL__N_17runRingIa7FuncSumIaE7ProtoLLLi0ELi4ELi0ELb0EEEviiP15ncclDevWorkColl.num_agpr, 0
	.set .L_ZN12_GLOBAL__N_17runRingIa7FuncSumIaE7ProtoLLLi0ELi4ELi0ELb0EEEviiP15ncclDevWorkColl.numbered_sgpr, 94
	.set .L_ZN12_GLOBAL__N_17runRingIa7FuncSumIaE7ProtoLLLi0ELi4ELi0ELb0EEEviiP15ncclDevWorkColl.num_named_barrier, 0
	.set .L_ZN12_GLOBAL__N_17runRingIa7FuncSumIaE7ProtoLLLi0ELi4ELi0ELb0EEEviiP15ncclDevWorkColl.private_seg_size, 188
	.set .L_ZN12_GLOBAL__N_17runRingIa7FuncSumIaE7ProtoLLLi0ELi4ELi0ELb0EEEviiP15ncclDevWorkColl.uses_vcc, 1
	.set .L_ZN12_GLOBAL__N_17runRingIa7FuncSumIaE7ProtoLLLi0ELi4ELi0ELb0EEEviiP15ncclDevWorkColl.uses_flat_scratch, 0
	.set .L_ZN12_GLOBAL__N_17runRingIa7FuncSumIaE7ProtoLLLi0ELi4ELi0ELb0EEEviiP15ncclDevWorkColl.has_dyn_sized_stack, 0
	.set .L_ZN12_GLOBAL__N_17runRingIa7FuncSumIaE7ProtoLLLi0ELi4ELi0ELb0EEEviiP15ncclDevWorkColl.has_recursion, 0
	.set .L_ZN12_GLOBAL__N_17runRingIa7FuncSumIaE7ProtoLLLi0ELi4ELi0ELb0EEEviiP15ncclDevWorkColl.has_indirect_call, 0
	.section	.AMDGPU.csdata,"",@progbits
; Function info:
; codeLenInByte = 11408
; TotalNumSgprs: 98
; NumVgprs: 64
; ScratchSize: 188
; MemoryBound: 0
	.text
	.p2align	2                               ; -- Begin function _Z42ncclDevFunc_AllGather_RING_LL_Sum_i8_0_0_4v
	.type	_Z42ncclDevFunc_AllGather_RING_LL_Sum_i8_0_0_4v,@function
_Z42ncclDevFunc_AllGather_RING_LL_Sum_i8_0_0_4v: ; @_Z42ncclDevFunc_AllGather_RING_LL_Sum_i8_0_0_4v
; %bb.0:
	s_waitcnt vmcnt(0) expcnt(0) lgkmcnt(0)
	s_mov_b32 s4, s33
	s_mov_b32 s33, s32
	s_or_saveexec_b64 s[6:7], -1
	buffer_store_dword v43, off, s[0:3], s33 offset:12 ; 4-byte Folded Spill
	s_mov_b64 exec, s[6:7]
	v_writelane_b32 v43, s4, 6
	s_addk_i32 s32, 0x800
	buffer_store_dword v40, off, s[0:3], s33 offset:8 ; 4-byte Folded Spill
	buffer_store_dword v41, off, s[0:3], s33 offset:4 ; 4-byte Folded Spill
	buffer_store_dword v42, off, s[0:3], s33 ; 4-byte Folded Spill
	v_writelane_b32 v43, s34, 0
	v_writelane_b32 v43, s35, 1
	;; [unrolled: 1-line block ×6, first 2 shown]
	s_trap 2
	ds_read_b32 v0, v0
	v_mov_b32_e32 v40, v31
	s_mov_b32 s34, s12
	s_waitcnt lgkmcnt(0)
	v_cmp_gt_i32_e32 vcc, 1, v0
	s_cbranch_vccnz .LBB15_8
; %bb.1:
	s_mov_b64 s[94:95], s[8:9]
	s_mov_b32 s35, 0
	v_and_b32_e32 v41, 0x3ff, v40
	v_mov_b32_e32 v42, 6
	s_branch .LBB15_3
.LBB15_2:                               ;   in Loop: Header=BB15_3 Depth=1
	s_or_b64 exec, exec, s[36:37]
	s_trap 2
	ds_read_b32 v0, v0
	s_add_i32 s35, s35, 1
	s_waitcnt lgkmcnt(0)
	v_cmp_lt_i32_e32 vcc, s35, v0
	s_cbranch_vccz .LBB15_8
.LBB15_3:                               ; =>This Inner Loop Header: Depth=1
	s_trap 2
	ds_read_b32 v0, v0
	s_cmp_eq_u32 s35, 0
	s_cbranch_scc1 .LBB15_6
; %bb.4:                                ;   in Loop: Header=BB15_3 Depth=1
	s_trap 2
	s_waitcnt lgkmcnt(0)
	ds_read_b32 v1, v0
	s_waitcnt lgkmcnt(0)
	v_xor_b32_e32 v1, v1, v0
	v_and_b32_e32 v1, 0xff0000, v1
	v_cmp_eq_u32_e32 vcc, 0, v1
	s_cbranch_vccnz .LBB15_6
; %bb.5:                                ;   in Loop: Header=BB15_3 Depth=1
	s_waitcnt vmcnt(0)
	s_barrier
	ds_read_b32 v0, v0
.LBB15_6:                               ;   in Loop: Header=BB15_3 Depth=1
	s_waitcnt lgkmcnt(0)
	v_lshlrev_b32_sdwa v1, v42, v0 dst_sel:DWORD dst_unused:UNUSED_PAD src0_sel:DWORD src1_sel:BYTE_2
	v_cmp_lt_u32_e32 vcc, v41, v1
	s_and_saveexec_b64 s[36:37], vcc
	s_cbranch_execz .LBB15_2
; %bb.7:                                ;   in Loop: Header=BB15_3 Depth=1
	s_mov_b64 s[4:5], src_shared_base
	s_getpc_b64 s[6:7]
	s_add_u32 s6, s6, _ZN12_GLOBAL__N_17runRingIa7FuncSumIaE7ProtoLLLi0ELi4ELi0ELb0EEEviiP15ncclDevWorkColl@rel32@lo+4
	s_addc_u32 s7, s7, _ZN12_GLOBAL__N_17runRingIa7FuncSumIaE7ProtoLLLi0ELi4ELi0ELb0EEEviiP15ncclDevWorkColl@rel32@hi+12
	s_mov_b64 s[8:9], s[94:95]
	s_mov_b32 s12, s34
	v_mov_b32_e32 v31, v40
	v_mov_b32_e32 v0, v41
	v_mov_b32_e32 v3, s5
	s_swappc_b64 s[30:31], s[6:7]
	s_branch .LBB15_2
.LBB15_8:
	buffer_load_dword v42, off, s[0:3], s33 ; 4-byte Folded Reload
	buffer_load_dword v41, off, s[0:3], s33 offset:4 ; 4-byte Folded Reload
	buffer_load_dword v40, off, s[0:3], s33 offset:8 ; 4-byte Folded Reload
	v_readlane_b32 s30, v43, 4
	v_readlane_b32 s31, v43, 5
	;; [unrolled: 1-line block ×6, first 2 shown]
	s_mov_b32 s32, s33
	v_readlane_b32 s4, v43, 6
	s_or_saveexec_b64 s[6:7], -1
	buffer_load_dword v43, off, s[0:3], s33 offset:12 ; 4-byte Folded Reload
	s_mov_b64 exec, s[6:7]
	s_mov_b32 s33, s4
	s_waitcnt vmcnt(0)
	s_setpc_b64 s[30:31]
.Lfunc_end15:
	.size	_Z42ncclDevFunc_AllGather_RING_LL_Sum_i8_0_0_4v, .Lfunc_end15-_Z42ncclDevFunc_AllGather_RING_LL_Sum_i8_0_0_4v
                                        ; -- End function
	.set .L_Z42ncclDevFunc_AllGather_RING_LL_Sum_i8_0_0_4v.num_vgpr, max(44, .L_ZN12_GLOBAL__N_17runRingIa7FuncSumIaE7ProtoLLLi0ELi4ELi0ELb0EEEviiP15ncclDevWorkColl.num_vgpr)
	.set .L_Z42ncclDevFunc_AllGather_RING_LL_Sum_i8_0_0_4v.num_agpr, max(0, .L_ZN12_GLOBAL__N_17runRingIa7FuncSumIaE7ProtoLLLi0ELi4ELi0ELb0EEEviiP15ncclDevWorkColl.num_agpr)
	.set .L_Z42ncclDevFunc_AllGather_RING_LL_Sum_i8_0_0_4v.numbered_sgpr, max(96, .L_ZN12_GLOBAL__N_17runRingIa7FuncSumIaE7ProtoLLLi0ELi4ELi0ELb0EEEviiP15ncclDevWorkColl.numbered_sgpr)
	.set .L_Z42ncclDevFunc_AllGather_RING_LL_Sum_i8_0_0_4v.num_named_barrier, max(0, .L_ZN12_GLOBAL__N_17runRingIa7FuncSumIaE7ProtoLLLi0ELi4ELi0ELb0EEEviiP15ncclDevWorkColl.num_named_barrier)
	.set .L_Z42ncclDevFunc_AllGather_RING_LL_Sum_i8_0_0_4v.private_seg_size, 32+max(.L_ZN12_GLOBAL__N_17runRingIa7FuncSumIaE7ProtoLLLi0ELi4ELi0ELb0EEEviiP15ncclDevWorkColl.private_seg_size)
	.set .L_Z42ncclDevFunc_AllGather_RING_LL_Sum_i8_0_0_4v.uses_vcc, or(1, .L_ZN12_GLOBAL__N_17runRingIa7FuncSumIaE7ProtoLLLi0ELi4ELi0ELb0EEEviiP15ncclDevWorkColl.uses_vcc)
	.set .L_Z42ncclDevFunc_AllGather_RING_LL_Sum_i8_0_0_4v.uses_flat_scratch, or(0, .L_ZN12_GLOBAL__N_17runRingIa7FuncSumIaE7ProtoLLLi0ELi4ELi0ELb0EEEviiP15ncclDevWorkColl.uses_flat_scratch)
	.set .L_Z42ncclDevFunc_AllGather_RING_LL_Sum_i8_0_0_4v.has_dyn_sized_stack, or(0, .L_ZN12_GLOBAL__N_17runRingIa7FuncSumIaE7ProtoLLLi0ELi4ELi0ELb0EEEviiP15ncclDevWorkColl.has_dyn_sized_stack)
	.set .L_Z42ncclDevFunc_AllGather_RING_LL_Sum_i8_0_0_4v.has_recursion, or(1, .L_ZN12_GLOBAL__N_17runRingIa7FuncSumIaE7ProtoLLLi0ELi4ELi0ELb0EEEviiP15ncclDevWorkColl.has_recursion)
	.set .L_Z42ncclDevFunc_AllGather_RING_LL_Sum_i8_0_0_4v.has_indirect_call, or(0, .L_ZN12_GLOBAL__N_17runRingIa7FuncSumIaE7ProtoLLLi0ELi4ELi0ELb0EEEviiP15ncclDevWorkColl.has_indirect_call)
	.section	.AMDGPU.csdata,"",@progbits
; Function info:
; codeLenInByte = 464
; TotalNumSgprs: 100
; NumVgprs: 64
; ScratchSize: 220
; MemoryBound: 0
	.text
	.p2align	2                               ; -- Begin function _ZN12_GLOBAL__N_17runRingIa7FuncSumIaE11ProtoSimpleILi2ELi2ELi0ELi4ELi0ELi0EELi0ELi4ELi0ELb0EEEviiP15ncclDevWorkColl
	.type	_ZN12_GLOBAL__N_17runRingIa7FuncSumIaE11ProtoSimpleILi2ELi2ELi0ELi4ELi0ELi0EELi0ELi4ELi0ELb0EEEviiP15ncclDevWorkColl,@function
_ZN12_GLOBAL__N_17runRingIa7FuncSumIaE11ProtoSimpleILi2ELi2ELi0ELi4ELi0ELi0EELi0ELi4ELi0ELb0EEEviiP15ncclDevWorkColl: ; @_ZN12_GLOBAL__N_17runRingIa7FuncSumIaE11ProtoSimpleILi2ELi2ELi0ELi4ELi0ELi0EELi0ELi4ELi0ELb0EEEviiP15ncclDevWorkColl
; %bb.0:
	s_waitcnt vmcnt(0) expcnt(0) lgkmcnt(0)
	s_mov_b32 s4, s33
	s_mov_b32 s33, s32
	s_or_saveexec_b64 s[6:7], -1
	buffer_store_dword v63, off, s[0:3], s33 offset:304 ; 4-byte Folded Spill
	s_mov_b64 exec, s[6:7]
	v_writelane_b32 v63, s4, 21
	s_addk_i32 s32, 0x5000
	buffer_store_dword v40, off, s[0:3], s33 offset:56 ; 4-byte Folded Spill
	buffer_store_dword v41, off, s[0:3], s33 offset:52 ; 4-byte Folded Spill
	;; [unrolled: 1-line block ×14, first 2 shown]
	buffer_store_dword v62, off, s[0:3], s33 ; 4-byte Folded Spill
	v_writelane_b32 v63, s34, 0
	v_writelane_b32 v63, s35, 1
	;; [unrolled: 1-line block ×21, first 2 shown]
	s_trap 2
	flat_load_dword v5, v[2:3]
	flat_load_dwordx4 v[17:20], v[2:3] offset:72
	flat_load_dwordx2 v[12:13], v[2:3] offset:88
	v_mov_b32_e32 v10, v1
	v_mov_b32_e32 v11, v0
	ds_read_b32 v1, v0
                                        ; implicit-def: $vgpr34_vgpr35
	s_waitcnt lgkmcnt(0)
	v_readfirstlane_b32 s52, v1
	s_waitcnt vmcnt(0)
	v_not_b32_sdwa v4, v5 dst_sel:DWORD dst_unused:UNUSED_PAD src0_sel:BYTE_0
	v_add_u32_sdwa v0, v5, v4 dst_sel:DWORD dst_unused:UNUSED_PAD src0_sel:BYTE_1 src1_sel:DWORD
	v_ashrrev_i32_e32 v6, 31, v0
	v_mul_lo_u32 v7, v20, v0
	v_mad_u64_u32 v[14:15], s[4:5], v19, v0, 0
	v_mul_lo_u32 v0, v19, v6
	v_cmp_ne_u32_sdwa s[4:5], v1, v5 src0_sel:DWORD src1_sel:BYTE_0
	ds_read_b64 v[8:9], v0
	v_add3_u32 v0, v15, v0, v7
	s_waitcnt lgkmcnt(0)
	buffer_store_dword v8, off, s[0:3], s33 offset:200 ; 4-byte Folded Spill
	s_nop 0
	buffer_store_dword v9, off, s[0:3], s33 offset:204 ; 4-byte Folded Spill
                                        ; implicit-def: $vgpr6_vgpr7
                                        ; kill: killed $vgpr6_vgpr7
	s_and_saveexec_b64 s[6:7], s[4:5]
	s_xor_b64 s[4:5], exec, s[6:7]
	s_cbranch_execz .LBB16_6
; %bb.1:
	v_cmp_ne_u32_sdwa s[6:7], v1, v5 src0_sel:DWORD src1_sel:BYTE_1
                                        ; implicit-def: $vgpr34_vgpr35
                                        ; implicit-def: $vgpr5_vgpr6
                                        ; kill: killed $vgpr5_vgpr6
	s_and_saveexec_b64 s[10:11], s[6:7]
	s_xor_b64 s[6:7], exec, s[10:11]
	s_cbranch_execz .LBB16_3
; %bb.2:
	flat_load_dwordx2 v[5:6], v[2:3] offset:96
	v_add_u32_e32 v1, v1, v4
	v_ashrrev_i32_e32 v4, 31, v1
	v_mul_lo_u32 v4, v19, v4
	v_mul_lo_u32 v7, v20, v1
	v_mad_u64_u32 v[8:9], s[10:11], v19, v1, v[17:18]
	v_add3_u32 v9, v7, v9, v4
	buffer_store_dword v8, off, s[0:3], s33 offset:224 ; 4-byte Folded Spill
	s_nop 0
	buffer_store_dword v9, off, s[0:3], s33 offset:228 ; 4-byte Folded Spill
	s_waitcnt vmcnt(0) lgkmcnt(0)
	v_lshrrev_b64 v[34:35], 21, v[5:6]
.LBB16_3:
	s_andn2_saveexec_b64 s[6:7], s[6:7]
	s_cbranch_execz .LBB16_5
; %bb.4:
	flat_load_dword v1, v[2:3] offset:100
	v_add_co_u32_e32 v4, vcc, v14, v17
	v_mov_b32_e32 v20, v13
	v_addc_co_u32_e32 v5, vcc, v0, v18, vcc
	v_mov_b32_e32 v19, v12
	buffer_store_dword v4, off, s[0:3], s33 offset:224 ; 4-byte Folded Spill
	s_nop 0
	buffer_store_dword v5, off, s[0:3], s33 offset:228 ; 4-byte Folded Spill
	s_waitcnt vmcnt(0) lgkmcnt(0)
	v_lshrrev_b32_e32 v34, 10, v1
.LBB16_5:
	s_or_b64 exec, exec, s[6:7]
.LBB16_6:
	s_andn2_saveexec_b64 s[4:5], s[4:5]
	s_cbranch_execz .LBB16_8
; %bb.7:
	flat_load_dwordx2 v[34:35], v[2:3] offset:96
	v_mov_b32_e32 v4, 0
	v_mov_b32_e32 v20, v18
	;; [unrolled: 1-line block ×4, first 2 shown]
	buffer_store_dword v4, off, s[0:3], s33 offset:224 ; 4-byte Folded Spill
	s_nop 0
	buffer_store_dword v5, off, s[0:3], s33 offset:228 ; 4-byte Folded Spill
.LBB16_8:
	s_or_b64 exec, exec, s[4:5]
	s_waitcnt vmcnt(0) lgkmcnt(0)
	flat_load_dwordx4 v[35:38], v[2:3] offset:16
	v_add_co_u32_e32 v1, vcc, v12, v17
	v_addc_co_u32_e32 v4, vcc, v13, v18, vcc
	v_add_co_u32_e32 v1, vcc, v1, v14
	v_addc_co_u32_e32 v0, vcc, v4, v0, vcc
	v_cmp_ge_i32_e32 vcc, v11, v10
	buffer_store_dword v1, off, s[0:3], s33 offset:208 ; 4-byte Folded Spill
	buffer_store_dword v0, off, s[0:3], s33 offset:212 ; 4-byte Folded Spill
	s_and_saveexec_b64 s[4:5], vcc
	s_xor_b64 s[6:7], exec, s[4:5]
	s_cbranch_execz .LBB16_33
; %bb.9:
	buffer_load_dword v0, off, s[0:3], s33 offset:200 ; 4-byte Folded Reload
	buffer_load_dword v1, off, s[0:3], s33 offset:204 ; 4-byte Folded Reload
	;; [unrolled: 1-line block ×4, first 2 shown]
	s_waitcnt vmcnt(0)
	flat_load_dword v0, v[0:1]
	s_waitcnt vmcnt(0) lgkmcnt(0)
	v_ashrrev_i32_e32 v1, 31, v0
	v_mul_lo_u32 v4, v2, v0
	v_mad_u64_u32 v[2:3], s[4:5], v5, v0, 0
	v_mul_lo_u32 v0, v5, v1
	v_add3_u32 v3, v3, v0, v4
	v_add_co_u32_e32 v0, vcc, v35, v2
	v_addc_co_u32_e32 v1, vcc, v36, v3, vcc
	v_cmp_ne_u64_e32 vcc, v[37:38], v[0:1]
	s_and_saveexec_b64 s[10:11], vcc
	s_cbranch_execz .LBB16_32
; %bb.10:
	buffer_load_dword v0, off, s[0:3], s33 offset:224 ; 4-byte Folded Reload
	buffer_load_dword v1, off, s[0:3], s33 offset:228 ; 4-byte Folded Reload
	v_sub_u32_e32 v6, v11, v10
	s_mov_b64 s[14:15], 0
	s_mov_b64 s[16:17], 0
	s_waitcnt vmcnt(1)
	v_add_co_u32_e32 v12, vcc, v37, v0
	s_waitcnt vmcnt(0)
	v_addc_co_u32_e32 v13, vcc, v38, v1, vcc
	v_add_co_u32_e32 v0, vcc, v35, v0
	v_addc_co_u32_e32 v1, vcc, v36, v1, vcc
	v_add_co_u32_e32 v14, vcc, v0, v2
	v_ashrrev_i16_e32 v0, 15, v6
	v_lshrrev_b16_e32 v0, 10, v0
	v_addc_co_u32_e32 v15, vcc, v1, v3, vcc
	v_add_u16_e32 v1, v6, v0
	v_and_b32_e32 v0, 0xffffffc0, v1
	v_sub_u16_e32 v0, v6, v0
	v_cmp_gt_i16_e32 vcc, 1, v0
	s_and_saveexec_b64 s[4:5], vcc
; %bb.11:
	v_or_b32_e32 v2, v12, v14
	v_and_b32_e32 v2, 15, v2
	v_cmp_ne_u32_e32 vcc, 0, v2
	s_and_b64 s[16:17], vcc, exec
; %bb.12:
	s_or_b64 exec, exec, s[4:5]
	v_ashrrev_i16_e32 v16, 6, v1
	v_cndmask_b32_e64 v1, 0, 1, s[16:17]
	v_cmp_ne_u32_e32 vcc, 0, v1
	s_cbranch_vccz .LBB16_14
; %bb.13:
	v_mov_b32_e32 v4, 0
	s_mov_b64 s[18:19], -1
	v_mov_b32_e32 v5, 0
	s_mov_b64 s[4:5], 0
                                        ; implicit-def: $vgpr2_vgpr3
                                        ; implicit-def: $vgpr0_vgpr1
                                        ; implicit-def: $vgpr17
	s_and_saveexec_b64 s[16:17], s[18:19]
	s_cbranch_execnz .LBB16_23
	s_branch .LBB16_26
.LBB16_14:
	v_bfe_i32 v17, v0, 0, 16
	v_ashrrev_i32_e32 v0, 31, v20
	v_lshrrev_b32_e32 v0, 19, v0
	v_add_co_u32_e32 v0, vcc, v19, v0
	v_addc_co_u32_e32 v1, vcc, 0, v20, vcc
	v_ashrrev_i64 v[8:9], 13, v[0:1]
	v_bfe_i32 v0, v16, 0, 16
	v_ashrrev_i32_e32 v1, 31, v0
	v_sub_co_u32_e32 v10, vcc, v8, v0
	v_subb_co_u32_e32 v11, vcc, v9, v1, vcc
	v_cmp_gt_i64_e32 vcc, 1, v[10:11]
	v_mov_b32_e32 v4, 0
	s_mov_b64 s[18:19], 0
	s_mov_b64 s[4:5], -1
	v_mov_b32_e32 v5, 0
                                        ; implicit-def: $vgpr2_vgpr3
                                        ; implicit-def: $vgpr0_vgpr1
                                        ; implicit-def: $vgpr6
	s_and_saveexec_b64 s[16:17], vcc
	s_cbranch_execz .LBB16_22
; %bb.15:
	v_lshlrev_b64 v[0:1], 13, v[8:9]
	v_mov_b32_e32 v4, 0
	v_cmp_ne_u64_e32 vcc, v[19:20], v[0:1]
	v_mov_b32_e32 v5, 0
	s_mov_b64 s[20:21], 0
                                        ; implicit-def: $vgpr2_vgpr3
                                        ; implicit-def: $vgpr8_vgpr9
                                        ; implicit-def: $vgpr6
	s_and_saveexec_b64 s[14:15], vcc
	s_cbranch_execz .LBB16_21
; %bb.16:
	v_sub_co_u32_e32 v6, vcc, v19, v0
	v_subb_co_u32_e32 v11, vcc, v20, v1, vcc
	v_ashrrev_i32_e32 v2, 31, v11
	v_lshrrev_b32_e32 v2, 22, v2
	v_add_co_u32_e32 v4, vcc, v6, v2
	v_addc_co_u32_e32 v5, vcc, 0, v11, vcc
	v_ashrrev_i64 v[7:8], 10, v[4:5]
	v_and_b32_e32 v2, 0xfffffc00, v4
	v_sub_co_u32_e32 v8, vcc, v6, v2
	v_subb_co_u32_e32 v9, vcc, v11, v5, vcc
	v_cmp_lt_i64_e32 vcc, 15, v[8:9]
	v_add_co_u32_e64 v4, s[4:5], v2, v0
	v_mov_b32_e32 v3, 0
	v_addc_co_u32_e64 v5, s[4:5], v5, v1, s[4:5]
	s_and_saveexec_b64 s[4:5], vcc
; %bb.17:
	v_add_co_u32_e32 v7, vcc, 1, v7
	v_and_b32_e32 v2, 15, v19
	v_sub_co_u32_e32 v8, vcc, v8, v2
	v_subbrev_co_u32_e32 v9, vcc, 0, v9, vcc
	v_add_co_u32_e32 v4, vcc, v8, v4
	v_addc_co_u32_e32 v5, vcc, v9, v5, vcc
	v_mov_b32_e32 v9, v3
	v_mov_b32_e32 v8, v2
; %bb.18:
	s_or_b64 exec, exec, s[4:5]
	v_lshlrev_b32_e32 v2, 6, v10
	v_sub_u32_e32 v2, v17, v2
	v_ashrrev_i32_e32 v3, 31, v2
	v_lshrrev_b32_e32 v3, 26, v3
	v_add_u32_e32 v3, v2, v3
	v_ashrrev_i32_e32 v10, 6, v3
	v_and_b32_e32 v3, 0xffffffc0, v3
	v_sub_u32_e32 v18, v2, v3
	v_lshlrev_b32_e32 v2, 4, v18
	v_lshl_add_u32 v2, v10, 10, v2
	v_ashrrev_i32_e32 v3, 31, v2
	v_sub_co_u32_e32 v19, vcc, v6, v2
	v_subb_co_u32_e32 v20, vcc, v11, v3, vcc
	v_cmp_gt_i64_e32 vcc, 16, v[19:20]
	s_mov_b64 s[4:5], 0
	s_mov_b64 s[18:19], -1
                                        ; implicit-def: $vgpr6
	s_and_saveexec_b64 s[20:21], vcc
; %bb.19:
	v_cmp_ne_u64_e32 vcc, 0, v[8:9]
	v_sub_u32_e32 v6, v10, v7
	v_lshl_add_u32 v6, v6, 6, v18
	s_xor_b64 s[18:19], exec, -1
	s_and_b64 s[4:5], vcc, exec
; %bb.20:
	s_or_b64 exec, exec, s[20:21]
	s_and_b64 s[20:21], s[18:19], exec
	s_and_b64 s[18:19], s[4:5], exec
.LBB16_21:
	s_or_b64 exec, exec, s[14:15]
	v_mov_b32_e32 v20, v9
	s_xor_b64 s[4:5], exec, -1
	s_and_b64 s[14:15], s[20:21], exec
	s_and_b64 s[18:19], s[18:19], exec
	v_mov_b32_e32 v19, v8
.LBB16_22:
	s_or_b64 exec, exec, s[16:17]
	s_and_saveexec_b64 s[16:17], s[18:19]
	s_cbranch_execz .LBB16_26
.LBB16_23:
	v_ashrrev_i32_e32 v7, 31, v6
	v_lshrrev_b32_e32 v7, 26, v7
	v_add_u32_e32 v7, v6, v7
	v_ashrrev_i32_e32 v8, 6, v7
	v_ashrrev_i32_e32 v7, 31, v20
	v_lshrrev_b32_e32 v7, 21, v7
	v_add_co_u32_e32 v9, vcc, v19, v7
	v_addc_co_u32_e32 v10, vcc, 0, v20, vcc
	v_ashrrev_i64 v[10:11], 11, v[9:10]
	v_ashrrev_i32_e32 v9, 31, v8
	v_cmp_gt_i64_e32 vcc, v[10:11], v[8:9]
	s_and_b64 exec, exec, vcc
	s_cbranch_execz .LBB16_26
; %bb.24:
	v_lshlrev_b32_e32 v7, 6, v8
	v_sub_u32_e32 v6, v6, v7
	v_lshl_add_u32 v6, v8, 11, v6
	v_ashrrev_i32_e32 v7, 31, v6
	v_add_co_u32_e32 v6, vcc, v4, v6
	v_addc_co_u32_e32 v7, vcc, v5, v7, vcc
	v_add_co_u32_e32 v4, vcc, v6, v14
	v_addc_co_u32_e32 v5, vcc, v7, v15, vcc
	;; [unrolled: 2-line block ×3, first 2 shown]
	s_and_b64 vcc, exec, -1
.LBB16_25:                              ; =>This Inner Loop Header: Depth=1
	flat_load_ubyte v8, v[6:7] glc slc
	flat_load_ubyte v9, v[6:7] offset:64 glc slc
	flat_load_ubyte v10, v[6:7] offset:128 glc slc
	;; [unrolled: 1-line block ×31, first 2 shown]
	s_waitcnt vmcnt(0) lgkmcnt(0)
	flat_store_byte v[4:5], v8 glc slc
	flat_store_byte v[4:5], v9 offset:64 glc slc
	flat_store_byte v[4:5], v10 offset:128 glc slc
	flat_store_byte v[4:5], v11 offset:192 glc slc
	flat_store_byte v[4:5], v18 offset:256 glc slc
	flat_store_byte v[4:5], v19 offset:320 glc slc
	flat_store_byte v[4:5], v20 offset:384 glc slc
	flat_store_byte v[4:5], v21 offset:448 glc slc
	flat_store_byte v[4:5], v22 offset:512 glc slc
	flat_store_byte v[4:5], v23 offset:576 glc slc
	flat_store_byte v[4:5], v24 offset:640 glc slc
	flat_store_byte v[4:5], v25 offset:704 glc slc
	flat_store_byte v[4:5], v26 offset:768 glc slc
	flat_store_byte v[4:5], v27 offset:832 glc slc
	flat_store_byte v[4:5], v28 offset:896 glc slc
	flat_store_byte v[4:5], v29 offset:960 glc slc
	flat_store_byte v[4:5], v30 offset:1024 glc slc
	flat_store_byte v[4:5], v31 offset:1088 glc slc
	flat_store_byte v[4:5], v32 offset:1152 glc slc
	flat_store_byte v[4:5], v33 offset:1216 glc slc
	flat_store_byte v[4:5], v34 offset:1280 glc slc
	flat_store_byte v[4:5], v35 offset:1344 glc slc
	flat_store_byte v[4:5], v36 offset:1408 glc slc
	flat_store_byte v[4:5], v37 offset:1472 glc slc
	flat_store_byte v[4:5], v38 offset:1536 glc slc
	flat_store_byte v[4:5], v39 offset:1600 glc slc
	flat_store_byte v[4:5], v48 offset:1664 glc slc
	flat_store_byte v[4:5], v49 offset:1728 glc slc
	flat_store_byte v[4:5], v50 offset:1792 glc slc
	flat_store_byte v[4:5], v51 offset:1856 glc slc
	flat_store_byte v[4:5], v52 offset:1920 glc slc
	flat_store_byte v[4:5], v53 offset:1984 glc slc
	s_mov_b64 vcc, vcc
	s_cbranch_vccnz .LBB16_25
.LBB16_26:
	s_or_b64 exec, exec, s[16:17]
	s_and_saveexec_b64 s[16:17], s[14:15]
	s_cbranch_execz .LBB16_29
; %bb.27:
	v_add_co_u32_e32 v2, vcc, v0, v2
	v_addc_co_u32_e32 v3, vcc, v1, v3, vcc
	v_add_co_u32_e32 v0, vcc, v2, v14
	v_addc_co_u32_e32 v1, vcc, v3, v15, vcc
	;; [unrolled: 2-line block ×3, first 2 shown]
	s_and_b64 vcc, exec, 0
.LBB16_28:                              ; =>This Inner Loop Header: Depth=1
	global_load_dwordx4 v[4:7], v[2:3], off glc slc
	s_waitcnt vmcnt(0)
	global_store_dwordx4 v[0:1], v[4:7], off glc slc
	s_mov_b64 vcc, vcc
	s_cbranch_vccz .LBB16_28
.LBB16_29:
	s_or_b64 exec, exec, s[16:17]
	s_and_saveexec_b64 s[14:15], s[4:5]
	s_xor_b64 s[14:15], exec, s[14:15]
	s_cbranch_execz .LBB16_32
; %bb.30:
	v_bfe_i32 v0, v16, 0, 16
	v_lshlrev_b32_e32 v1, 4, v17
	v_lshl_add_u32 v2, v0, 13, v1
	v_ashrrev_i32_e32 v3, 31, v2
	v_add_co_u32_e32 v0, vcc, v14, v2
	v_addc_co_u32_e32 v1, vcc, v15, v3, vcc
	v_add_co_u32_e32 v2, vcc, v12, v2
	v_addc_co_u32_e32 v3, vcc, v13, v3, vcc
	;; [unrolled: 2-line block ×5, first 2 shown]
	v_add_co_u32_e32 v10, vcc, 0x1c00, v2
	s_movk_i32 s4, 0x1000
	v_addc_co_u32_e32 v11, vcc, 0, v3, vcc
	v_add_co_u32_e32 v12, vcc, s4, v0
	v_addc_co_u32_e32 v13, vcc, 0, v1, vcc
	v_add_co_u32_e32 v14, vcc, 0x1400, v0
	;; [unrolled: 2-line block ×4, first 2 shown]
	v_addc_co_u32_e32 v19, vcc, 0, v1, vcc
	s_and_b64 vcc, exec, 0
.LBB16_31:                              ; =>This Inner Loop Header: Depth=1
	global_load_dwordx4 v[20:23], v[2:3], off glc slc
	global_load_dwordx4 v[24:27], v[2:3], off offset:1024 glc slc
	global_load_dwordx4 v[28:31], v[2:3], off offset:2048 glc slc
	;; [unrolled: 1-line block ×3, first 2 shown]
	global_load_dwordx4 v[36:39], v[4:5], off glc slc
	global_load_dwordx4 v[48:51], v[6:7], off glc slc
	;; [unrolled: 1-line block ×4, first 2 shown]
	s_waitcnt vmcnt(0)
	global_store_dwordx4 v[0:1], v[20:23], off glc slc
	global_store_dwordx4 v[0:1], v[24:27], off offset:1024 glc slc
	global_store_dwordx4 v[0:1], v[28:31], off offset:2048 glc slc
	;; [unrolled: 1-line block ×3, first 2 shown]
	global_store_dwordx4 v[12:13], v[36:39], off glc slc
	global_store_dwordx4 v[14:15], v[48:51], off glc slc
	;; [unrolled: 1-line block ×4, first 2 shown]
	s_mov_b64 vcc, vcc
	s_cbranch_vccz .LBB16_31
.LBB16_32:
	s_or_b64 exec, exec, s[10:11]
                                        ; implicit-def: $vgpr0_vgpr1
                                        ; kill: killed $vgpr0_vgpr1
                                        ; implicit-def: $vgpr34_vgpr35
                                        ; implicit-def: $vgpr19_vgpr20
                                        ; implicit-def: $vgpr11
                                        ; implicit-def: $vgpr10
                                        ; implicit-def: $vgpr31
                                        ; implicit-def: $vgpr2_vgpr3
                                        ; implicit-def: $vgpr0_vgpr1
                                        ; kill: killed $vgpr0_vgpr1
                                        ; implicit-def: $vgpr35_vgpr36_vgpr37_vgpr38
                                        ; implicit-def: $vgpr0
                                        ; kill: killed $vgpr0
                                        ; implicit-def: $vgpr0
                                        ; kill: killed $vgpr0
.LBB16_33:
	s_andn2_saveexec_b64 s[44:45], s[6:7]
	s_cbranch_execz .LBB16_1052
; %bb.34:
	s_trap 2
	ds_read_b64 v[0:1], v0
	s_waitcnt lgkmcnt(0)
	v_cmp_ne_u32_e32 vcc, -1, v0
	v_cndmask_b32_e64 v16, 0, 1, vcc
	v_cmp_ne_u32_e32 vcc, -1, v1
	v_addc_co_u32_e64 v0, s[4:5], 0, v16, vcc
	v_lshlrev_b32_e32 v1, 1, v0
	v_cmp_le_u32_e64 s[4:5], v1, v10
	s_and_saveexec_b64 s[6:7], s[4:5]
	s_xor_b64 s[46:47], exec, s[6:7]
	s_cbranch_execz .LBB16_1049
; %bb.35:
	flat_load_dwordx2 v[4:5], v[2:3] offset:104
	flat_load_ushort v13, v[2:3] offset:8
	flat_load_dword v12, v[2:3] offset:4
	s_trap 2
	s_load_dword s4, s[8:9], 0x0
	v_mov_b32_e32 v1, 0
	v_mov_b32_e32 v6, v11
	;; [unrolled: 1-line block ×4, first 2 shown]
	s_waitcnt lgkmcnt(0)
	s_cmp_lt_u32 s12, s4
	s_cselect_b32 s4, 12, 18
	s_add_u32 s4, s8, s4
	s_addc_u32 s5, s9, 0
	global_load_ushort v11, v1, s[4:5]
	ds_read_b32 v1, v0
	v_cmp_ge_i32_e64 s[4:5], v6, v16
	s_waitcnt lgkmcnt(0)
	v_readfirstlane_b32 s12, v1
	s_and_saveexec_b64 s[6:7], s[4:5]
	s_cbranch_execz .LBB16_45
; %bb.36:
	v_cmp_ge_u32_e64 s[4:5], v17, v0
                                        ; implicit-def: $vgpr56
	s_and_saveexec_b64 s[10:11], s[4:5]
	s_xor_b64 s[4:5], exec, s[10:11]
	s_cbranch_execz .LBB16_42
; %bb.37:
	v_cndmask_b32_e64 v1, 0, 1, vcc
	v_sub_u32_e32 v1, v10, v1
	v_cmp_ge_u32_e32 vcc, v17, v1
	s_and_saveexec_b64 s[10:11], vcc
	s_xor_b64 s[10:11], exec, s[10:11]
; %bb.38:
                                        ; implicit-def: $vgpr0
; %bb.39:
	s_or_saveexec_b64 s[10:11], s[10:11]
	v_mov_b32_e32 v56, 16
	s_xor_b64 exec, exec, s[10:11]
; %bb.40:
	v_sub_u32_e32 v0, v10, v0
	v_cmp_lt_i32_e32 vcc, v17, v0
	v_cndmask_b32_e64 v56, 32, 0, vcc
; %bb.41:
	s_or_b64 exec, exec, s[10:11]
.LBB16_42:
	s_andn2_saveexec_b64 s[4:5], s[4:5]
; %bb.43:
	v_mov_b32_e32 v56, 8
; %bb.44:
	s_or_b64 exec, exec, s[4:5]
.LBB16_45:
	s_or_b64 exec, exec, s[6:7]
	v_and_b32_e32 v0, 36, v56
	v_cmp_ne_u32_e32 vcc, 0, v0
	v_mov_b32_e32 v14, -1
	s_and_saveexec_b64 s[4:5], vcc
	s_cbranch_execz .LBB16_47
; %bb.46:
	s_trap 2
	ds_read_b32 v14, v0
.LBB16_47:
	s_or_b64 exec, exec, s[4:5]
	v_and_b32_e32 v0, 24, v56
	v_cmp_ne_u32_e64 s[4:5], 0, v0
	s_and_saveexec_b64 s[6:7], s[4:5]
	s_cbranch_execz .LBB16_49
; %bb.48:
	s_trap 2
	s_waitcnt lgkmcnt(0)
	ds_read_b32 v14, v0
.LBB16_49:
	s_or_b64 exec, exec, s[6:7]
	s_waitcnt vmcnt(0)
	v_lshrrev_b64 v[0:1], 31, v[12:13]
	v_mov_b32_e32 v12, 0
	v_mov_b32_e32 v26, 0
	;; [unrolled: 1-line block ×4, first 2 shown]
	v_and_b32_e32 v0, 3, v0
                                        ; implicit-def: $vgpr6_vgpr7
                                        ; kill: killed $vgpr6_vgpr7
                                        ; implicit-def: $vgpr1
                                        ; kill: killed $vgpr1
                                        ; implicit-def: $vgpr48_vgpr49
                                        ; implicit-def: $vgpr60_vgpr61
                                        ; implicit-def: $vgpr32_vgpr33
                                        ; implicit-def: $vgpr24_vgpr25
	s_and_saveexec_b64 s[4:5], vcc
	s_cbranch_execz .LBB16_59
; %bb.50:
	s_trap 2
	ds_read_b64 v[6:7], v0
	s_waitcnt lgkmcnt(1)
	v_ashrrev_i32_e32 v15, 31, v14
	v_lshlrev_b64 v[8:9], 3, v[14:15]
	v_and_b32_e32 v1, 0xffff, v0
	s_movk_i32 s6, 0xa8
	s_waitcnt lgkmcnt(0)
	v_add_co_u32_e32 v6, vcc, v6, v8
	v_addc_co_u32_e32 v7, vcc, v7, v9, vcc
	flat_load_dwordx2 v[6:7], v[6:7]
	s_waitcnt vmcnt(0) lgkmcnt(0)
	v_mad_u64_u32 v[28:29], s[6:7], v1, s6, v[6:7]
                                        ; implicit-def: $vgpr6_vgpr7
                                        ; kill: killed $vgpr6_vgpr7
	flat_load_dword v1, v[28:29] offset:640
	s_waitcnt vmcnt(0) lgkmcnt(0)
	v_cmp_eq_u32_e32 vcc, 1, v1
	s_and_saveexec_b64 s[6:7], vcc
	s_cbranch_execz .LBB16_52
; %bb.51:
	flat_load_dwordx2 v[8:9], v[28:29] offset:648
	v_or_b32_e32 v56, 0x2000, v56
	s_waitcnt vmcnt(0) lgkmcnt(0)
	flat_load_dwordx2 v[6:7], v[8:9]
	s_trap 2
	s_waitcnt vmcnt(0) lgkmcnt(0)
	ds_write_b64 v0, v[6:7]
	flat_load_dwordx2 v[6:7], v[8:9] offset:8
	s_waitcnt vmcnt(0) lgkmcnt(0)
	ds_write_b64 v0, v[6:7]
	buffer_store_dword v8, off, s[0:3], s33 offset:296 ; 4-byte Folded Spill
	s_nop 0
	buffer_store_dword v9, off, s[0:3], s33 offset:300 ; 4-byte Folded Spill
	flat_load_dwordx2 v[6:7], v[8:9] offset:16
	s_waitcnt vmcnt(0) lgkmcnt(0)
	ds_write_b64 v0, v[6:7]
.LBB16_52:
	s_or_b64 exec, exec, s[6:7]
	flat_load_dwordx2 v[6:7], v[28:29] offset:608
	v_and_b32_e32 v1, 32, v56
                                        ; implicit-def: $vgpr24_vgpr25
	s_waitcnt vmcnt(0) lgkmcnt(0)
	v_add_co_u32_e32 v6, vcc, 3, v6
	v_addc_co_u32_e32 v49, vcc, 0, v7, vcc
	v_and_b32_e32 v48, -4, v6
	v_cmp_ne_u32_e32 vcc, 0, v1
	s_and_saveexec_b64 s[6:7], vcc
	s_cbranch_execz .LBB16_54
; %bb.53:
	flat_load_dwordx2 v[24:25], v[28:29] offset:560
	s_waitcnt vmcnt(0) lgkmcnt(0)
	flat_store_dwordx2 v[24:25], v[48:49]
.LBB16_54:
	s_or_b64 exec, exec, s[6:7]
	v_add_co_u32_e32 v12, vcc, 0x1f8, v28
	v_addc_co_u32_e32 v13, vcc, 0, v29, vcc
	v_and_b32_e32 v1, 4, v56
	v_mov_b32_e32 v26, 0
	v_mov_b32_e32 v27, 0
	v_cmp_ne_u32_e32 vcc, 0, v1
                                        ; implicit-def: $vgpr1
                                        ; kill: killed $vgpr1
                                        ; implicit-def: $vgpr60_vgpr61
                                        ; implicit-def: $vgpr32_vgpr33
	s_and_saveexec_b64 s[6:7], vcc
	s_cbranch_execz .LBB16_58
; %bb.55:
	v_and_b32_e32 v1, 0x800, v56
	v_cmp_eq_u32_e32 vcc, 0, v1
	s_and_saveexec_b64 s[10:11], vcc
	s_cbranch_execz .LBB16_57
; %bb.56:
	s_trap 2
	ds_write_b64 v0, v[12:13]
.LBB16_57:
	s_or_b64 exec, exec, s[10:11]
	flat_load_dwordx2 v[24:25], v[28:29] offset:552
	s_waitcnt vmcnt(0) lgkmcnt(0)
	flat_load_dwordx2 v[32:33], v[24:25] glc
	flat_load_dwordx2 v[6:7], v[28:29] offset:600
	flat_load_dword v1, v[28:29] offset:576
	flat_load_dwordx2 v[60:61], v[28:29] offset:520
	s_waitcnt vmcnt(0) lgkmcnt(0)
	v_cmp_eq_u64_e32 vcc, 0, v[6:7]
	buffer_store_dword v1, off, s[0:3], s33 offset:68 ; 4-byte Folded Spill
	v_or_b32_e32 v1, 0x100, v56
	v_mov_b32_e32 v27, v7
	v_mov_b32_e32 v26, v6
	v_cndmask_b32_e32 v56, v1, v56, vcc
.LBB16_58:
	s_or_b64 exec, exec, s[6:7]
.LBB16_59:
	s_or_b64 exec, exec, s[4:5]
	v_and_b32_e32 v1, 24, v56
	v_cmp_ne_u32_e32 vcc, 0, v1
                                        ; implicit-def: $vgpr6_vgpr7
                                        ; kill: killed $vgpr6_vgpr7
	s_and_saveexec_b64 s[4:5], vcc
	s_cbranch_execz .LBB16_67
; %bb.60:
	s_trap 2
	ds_read_b64 v[6:7], v0
	s_waitcnt lgkmcnt(0)
	v_ashrrev_i32_e32 v15, 31, v14
	v_lshlrev_b64 v[8:9], 3, v[14:15]
	v_and_b32_e32 v0, 0xffff, v0
	s_movk_i32 s6, 0xa8
	v_add_co_u32_e32 v6, vcc, v6, v8
	v_addc_co_u32_e32 v7, vcc, v7, v9, vcc
	flat_load_dwordx2 v[6:7], v[6:7]
	s_waitcnt vmcnt(0) lgkmcnt(0)
	v_mad_u64_u32 v[12:13], s[6:7], v0, s6, v[6:7]
	v_or_b32_e32 v0, 0x100, v56
	flat_load_dwordx4 v[26:29], v[12:13] offset:96
	s_waitcnt vmcnt(0) lgkmcnt(0)
	v_cmp_eq_u64_e32 vcc, 0, v[26:27]
	v_cndmask_b32_e32 v56, v0, v56, vcc
	v_and_b32_e32 v0, 16, v56
	v_cmp_ne_u32_e32 vcc, 0, v0
                                        ; implicit-def: $vgpr0_vgpr1
                                        ; kill: killed $vgpr0_vgpr1
	s_and_saveexec_b64 s[6:7], vcc
	s_cbranch_execz .LBB16_62
; %bb.61:
	flat_load_dwordx2 v[24:25], v[12:13] offset:48
	flat_load_dwordx2 v[0:1], v[12:13] offset:120
	s_waitcnt vmcnt(0) lgkmcnt(0)
	buffer_store_dword v0, off, s[0:3], s33 offset:124 ; 4-byte Folded Spill
	s_nop 0
	buffer_store_dword v1, off, s[0:3], s33 offset:128 ; 4-byte Folded Spill
	flat_load_dwordx2 v[60:61], v[12:13] offset:16
.LBB16_62:
	s_or_b64 exec, exec, s[6:7]
	v_add_co_u32_e32 v0, vcc, 3, v28
	v_addc_co_u32_e32 v49, vcc, 0, v29, vcc
	v_and_b32_e32 v48, -4, v0
	v_and_b32_e32 v0, 8, v56
	v_cmp_ne_u32_e32 vcc, 0, v0
	s_and_saveexec_b64 s[6:7], vcc
	s_cbranch_execz .LBB16_66
; %bb.63:
	v_and_b32_e32 v0, 0x800, v56
	v_cmp_eq_u32_e32 vcc, 0, v0
	s_and_saveexec_b64 s[10:11], vcc
	s_cbranch_execz .LBB16_65
; %bb.64:
	s_trap 2
	ds_write_b64 v0, v[12:13]
.LBB16_65:
	s_or_b64 exec, exec, s[10:11]
	flat_load_dwordx2 v[24:25], v[12:13] offset:56
	s_waitcnt vmcnt(0) lgkmcnt(0)
	flat_load_dwordx2 v[32:33], v[24:25] glc
	flat_load_dword v0, v[12:13] offset:72
	flat_load_dwordx2 v[60:61], v[12:13] offset:16
	s_waitcnt vmcnt(0) lgkmcnt(0)
	buffer_store_dword v0, off, s[0:3], s33 offset:68 ; 4-byte Folded Spill
.LBB16_66:
	s_or_b64 exec, exec, s[6:7]
.LBB16_67:
	s_or_b64 exec, exec, s[4:5]
	v_cmp_eq_u32_e64 s[4:5], 0, v17
	s_and_saveexec_b64 s[6:7], s[4:5]
	s_cbranch_execz .LBB16_69
; %bb.68:
	flat_load_dwordx2 v[0:1], v[2:3] offset:32
	v_mov_b32_e32 v6, v37
	v_mov_b32_e32 v7, v38
	;; [unrolled: 1-line block ×4, first 2 shown]
	s_waitcnt vmcnt(0) lgkmcnt(0)
	ds_write2_b64 v0, v[6:7], v[8:9] offset1:1
	s_trap 2
	ds_write_b64 v0, v[0:1]
	ds_write_b64 v0, v[4:5]
.LBB16_69:
	s_or_b64 exec, exec, s[6:7]
	v_mov_b32_e32 v28, 0
	v_cmp_ne_u64_e32 vcc, 0, v[19:20]
	v_mov_b32_e32 v29, 0
	s_and_saveexec_b64 s[56:57], vcc
	s_cbranch_execz .LBB16_1015
; %bb.70:
	buffer_store_dword v12, off, s[0:3], s33 offset:288 ; 4-byte Folded Spill
	s_nop 0
	buffer_store_dword v13, off, s[0:3], s33 offset:292 ; 4-byte Folded Spill
	v_lshlrev_b32_e32 v0, 9, v34
	v_and_b32_e32 v4, 0x3ffffe00, v0
	flat_load_dword v0, v[2:3] offset:4
	v_cvt_f64_u32_e32 v[1:2], 0
	buffer_store_dword v4, off, s[0:3], s33 offset:264 ; 4-byte Folded Spill
	v_cvt_f64_u32_e32 v[3:4], v4
	s_ashr_i32 s6, s12, 31
	v_ldexp_f64 v[1:2], v[1:2], 32
	s_lshr_b32 s6, s6, 25
	s_add_i32 s12, s12, s6
	v_cmp_ne_u32_sdwa s[58:59], v10, v11 src0_sel:DWORD src1_sel:WORD_0
	v_lshrrev_b32_e32 v62, 6, v10
	v_and_b32_e32 v5, 0x3fc0, v10
	s_movk_i32 s18, 0x400
	s_ashr_i32 s53, s12, 7
	v_add_f64 v[1:2], v[1:2], v[3:4]
	s_cmp_gt_i32 s52, 2
	v_mov_b32_e32 v6, 0
	v_mov_b32_e32 v28, 0
	;; [unrolled: 1-line block ×3, first 2 shown]
	buffer_store_dword v1, off, s[0:3], s33 offset:268 ; 4-byte Folded Spill
	s_nop 0
	buffer_store_dword v2, off, s[0:3], s33 offset:272 ; 4-byte Folded Spill
	v_and_b32_e32 v1, 63, v31
	v_cmp_eq_u32_e64 s[6:7], 0, v1
	buffer_load_dword v1, off, s[0:3], s33 offset:68 ; 4-byte Folded Reload
	v_cmp_eq_u32_e64 s[10:11], 64, v10
	buffer_store_dword v31, off, s[0:3], s33 offset:280 ; 4-byte Folded Spill
	v_cmp_ne_u32_e64 s[12:13], 64, v10
	s_movk_i32 s54, 0xffc0
	s_movk_i32 s55, 0xfc00
	v_lshlrev_b32_e32 v52, 13, v62
	s_mov_b64 s[60:61], 0
	s_cselect_b64 s[62:63], -1, 0
	s_add_i32 s64, s52, -2
	v_mov_b32_e32 v7, 0
	v_mov_b32_e32 v29, 0
	;; [unrolled: 1-line block ×3, first 2 shown]
	s_movk_i32 s65, 0x1000
	s_movk_i32 s66, 0x108
	v_mov_b32_e32 v39, 0xd0
	v_mov_b32_e32 v50, 0x88
	v_lshlrev_b32_e32 v23, 11, v62
	s_waitcnt vmcnt(0) lgkmcnt(0)
	v_and_b32_e32 v0, 1, v0
	v_ashrrev_i32_e32 v1, 31, v1
	buffer_store_dword v1, off, s[0:3], s33 offset:136 ; 4-byte Folded Spill
	s_trap 2
	buffer_store_dword v11, off, s[0:3], s33 offset:284 ; 4-byte Folded Spill
	v_mov_b32_e32 v11, v17
	v_ashrrev_i32_e32 v1, 31, v11
	v_lshrrev_b32_e32 v1, 26, v1
	v_add_u32_e32 v1, v11, v1
	v_ashrrev_i32_e32 v2, 6, v1
	v_and_b32_e32 v1, 0xffffffc0, v1
	v_sub_u32_e32 v3, v11, v1
	v_lshlrev_b32_e32 v1, 12, v2
	buffer_store_dword v2, off, s[0:3], s33 offset:132 ; 4-byte Folded Spill
	v_lshl_add_u32 v2, v3, 4, v1
	v_ashrrev_i32_e32 v4, 31, v2
	buffer_store_dword v4, off, s[0:3], s33 offset:196 ; 4-byte Folded Spill
	v_lshlrev_b32_e32 v4, 10, v62
	v_add_u32_e32 v4, 0xfffffc00, v4
	buffer_store_dword v5, off, s[0:3], s33 offset:88 ; 4-byte Folded Spill
	v_subrev_u32_e32 v5, 64, v5
	buffer_store_dword v4, off, s[0:3], s33 offset:140 ; 4-byte Folded Spill
	buffer_store_dword v10, off, s[0:3], s33 offset:276 ; 4-byte Folded Spill
	;; [unrolled: 1-line block ×4, first 2 shown]
	buffer_load_dword v30, off, s[0:3], s33 offset:124 ; 4-byte Folded Reload
	buffer_load_dword v31, off, s[0:3], s33 offset:128 ; 4-byte Folded Reload
	v_ashrrev_i32_e32 v51, 31, v4
	v_add_co_u32_e32 v22, vcc, s18, v4
	v_addc_co_u32_e32 v4, vcc, 0, v51, vcc
	v_ashrrev_i32_e32 v15, 31, v5
	v_add_co_u32_e32 v14, vcc, 64, v5
	v_add_u32_e32 v21, v2, v1
	v_cmp_eq_u32_e64 s[18:19], 1, v0
	v_mov_b32_e32 v0, v26
	v_cmp_gt_i32_e64 s[14:15], 1, v3
	v_cmp_le_i32_e64 s[16:17], v3, v16
	v_addc_co_u32_e32 v12, vcc, 0, v15, vcc
	v_ashrrev_i32_e32 v34, 31, v21
	v_cmp_lt_i32_e64 s[24:25], v3, v16
	v_mov_b32_e32 v16, v4
	s_xor_b64 s[72:73], s[18:19], -1
	v_mov_b32_e32 v1, v27
	buffer_store_dword v3, off, s[0:3], s33 offset:168 ; 4-byte Folded Spill
	buffer_store_dword v11, off, s[0:3], s33 offset:156 ; 4-byte Folded Spill
	;; [unrolled: 1-line block ×3, first 2 shown]
	s_nop 0
	buffer_store_dword v1, off, s[0:3], s33 offset:112 ; 4-byte Folded Spill
	buffer_store_dword v2, off, s[0:3], s33 offset:116 ; 4-byte Folded Spill
	;; [unrolled: 1-line block ×4, first 2 shown]
	s_nop 0
	buffer_store_dword v61, off, s[0:3], s33 offset:164 ; 4-byte Folded Spill
	buffer_store_dword v51, off, s[0:3], s33 offset:100 ; 4-byte Folded Spill
	;; [unrolled: 1-line block ×10, first 2 shown]
	s_nop 0
	buffer_store_dword v18, off, s[0:3], s33 offset:236 ; 4-byte Folded Spill
	buffer_store_dword v19, off, s[0:3], s33 offset:240 ; 4-byte Folded Spill
	;; [unrolled: 1-line block ×4, first 2 shown]
	s_nop 0
	buffer_store_dword v36, off, s[0:3], s33 offset:252 ; 4-byte Folded Spill
	buffer_store_dword v37, off, s[0:3], s33 offset:256 ; 4-byte Folded Spill
	;; [unrolled: 1-line block ×4, first 2 shown]
	s_waitcnt vmcnt(25)
	v_cmp_eq_u64_e64 s[20:21], 0, v[30:31]
	v_cmp_ne_u64_e64 s[22:23], 0, v[30:31]
	s_branch .LBB16_73
.LBB16_71:                              ;   in Loop: Header=BB16_73 Depth=1
	s_or_b64 exec, exec, s[40:41]
.LBB16_72:                              ;   in Loop: Header=BB16_73 Depth=1
	s_or_b64 exec, exec, s[28:29]
	buffer_load_dword v0, off, s[0:3], s33 offset:264 ; 4-byte Folded Reload
	s_waitcnt vmcnt(0)
	v_add_co_u32_e32 v6, vcc, v6, v0
	buffer_load_dword v0, off, s[0:3], s33 offset:232 ; 4-byte Folded Reload
	buffer_load_dword v1, off, s[0:3], s33 offset:236 ; 4-byte Folded Reload
	;; [unrolled: 1-line block ×8, first 2 shown]
	v_addc_co_u32_e32 v7, vcc, 0, v7, vcc
	s_waitcnt vmcnt(0)
	v_mov_b32_e32 v20, v3
	v_mov_b32_e32 v19, v2
	v_cmp_ge_u64_e32 vcc, v[6:7], v[19:20]
	s_or_b64 s[60:61], vcc, s[60:61]
	s_andn2_b64 exec, exec, s[60:61]
	s_cbranch_execz .LBB16_1014
.LBB16_73:                              ; =>This Loop Header: Depth=1
                                        ;     Child Loop BB16_78 Depth 2
                                        ;       Child Loop BB16_86 Depth 3
                                        ;       Child Loop BB16_110 Depth 3
	;; [unrolled: 1-line block ×9, first 2 shown]
                                        ;         Child Loop BB16_165 Depth 4
                                        ;       Child Loop BB16_174 Depth 3
                                        ;       Child Loop BB16_179 Depth 3
                                        ;         Child Loop BB16_180 Depth 4
                                        ;       Child Loop BB16_218 Depth 3
                                        ;       Child Loop BB16_237 Depth 3
                                        ;     Child Loop BB16_255 Depth 2
                                        ;       Child Loop BB16_261 Depth 3
                                        ;       Child Loop BB16_285 Depth 3
	;; [unrolled: 1-line block ×3, first 2 shown]
                                        ;     Child Loop BB16_329 Depth 2
                                        ;       Child Loop BB16_337 Depth 3
                                        ;       Child Loop BB16_361 Depth 3
	;; [unrolled: 1-line block ×9, first 2 shown]
                                        ;     Child Loop BB16_735 Depth 2
                                        ;       Child Loop BB16_741 Depth 3
                                        ;       Child Loop BB16_765 Depth 3
	;; [unrolled: 1-line block ×3, first 2 shown]
                                        ;     Child Loop BB16_470 Depth 2
                                        ;       Child Loop BB16_473 Depth 3
                                        ;         Child Loop BB16_481 Depth 4
                                        ;         Child Loop BB16_509 Depth 4
	;; [unrolled: 1-line block ×9, first 2 shown]
                                        ;           Child Loop BB16_563 Depth 5
                                        ;         Child Loop BB16_572 Depth 4
                                        ;         Child Loop BB16_577 Depth 4
                                        ;           Child Loop BB16_578 Depth 5
                                        ;         Child Loop BB16_616 Depth 4
                                        ;         Child Loop BB16_635 Depth 4
                                        ;       Child Loop BB16_653 Depth 3
                                        ;         Child Loop BB16_659 Depth 4
                                        ;         Child Loop BB16_687 Depth 4
	;; [unrolled: 1-line block ×3, first 2 shown]
                                        ;     Child Loop BB16_807 Depth 2
                                        ;       Child Loop BB16_815 Depth 3
                                        ;       Child Loop BB16_839 Depth 3
	;; [unrolled: 1-line block ×9, first 2 shown]
                                        ;     Child Loop BB16_948 Depth 2
                                        ;       Child Loop BB16_954 Depth 3
                                        ;       Child Loop BB16_978 Depth 3
	;; [unrolled: 1-line block ×3, first 2 shown]
	v_sub_co_u32_e32 v2, vcc, v19, v6
	v_subb_co_u32_e32 v0, vcc, v20, v7, vcc
	v_cvt_f64_u32_e32 v[0:1], v0
	v_cvt_f64_u32_e32 v[2:3], v2
	v_ldexp_f64 v[0:1], v[0:1], 32
	v_add_f64 v[0:1], v[0:1], v[2:3]
	buffer_load_dword v2, off, s[0:3], s33 offset:268 ; 4-byte Folded Reload
	buffer_load_dword v3, off, s[0:3], s33 offset:272 ; 4-byte Folded Reload
	s_waitcnt vmcnt(0)
	v_max_f64 v[2:3], v[2:3], v[2:3]
	v_min_f64 v[0:1], v[2:3], v[0:1]
	v_cvt_i32_f64_e32 v0, v[0:1]
	buffer_load_dword v1, off, s[0:3], s33 offset:224 ; 4-byte Folded Reload
	buffer_load_dword v2, off, s[0:3], s33 offset:228 ; 4-byte Folded Reload
	v_max_i32_e32 v10, 0, v0
	s_waitcnt vmcnt(0)
	v_add_co_u32_e32 v5, vcc, v6, v1
	buffer_store_dword v6, off, s[0:3], s33 offset:216 ; 4-byte Folded Spill
	s_nop 0
	buffer_store_dword v7, off, s[0:3], s33 offset:220 ; 4-byte Folded Spill
	s_waitcnt vmcnt(2)
	v_addc_co_u32_e32 v6, vcc, v7, v2, vcc
	buffer_load_dword v1, off, s[0:3], s33 offset:200 ; 4-byte Folded Reload
	buffer_load_dword v2, off, s[0:3], s33 offset:204 ; 4-byte Folded Reload
	;; [unrolled: 1-line block ×4, first 2 shown]
	s_waitcnt vmcnt(0)
	flat_load_dword v1, v[1:2]
	s_waitcnt vmcnt(0) lgkmcnt(0)
	v_ashrrev_i32_e32 v2, 31, v1
	v_mul_lo_u32 v3, v3, v1
	v_mad_u64_u32 v[54:55], s[26:27], v4, v1, v[5:6]
	v_add_co_u32_e32 v1, vcc, v37, v5
	buffer_store_dword v5, off, s[0:3], s33 offset:180 ; 4-byte Folded Spill
	s_nop 0
	buffer_store_dword v6, off, s[0:3], s33 offset:184 ; 4-byte Folded Spill
	v_mul_lo_u32 v2, v4, v2
	v_cmp_lt_i32_e64 s[26:27], 0, v0
	v_add3_u32 v55, v3, v55, v2
	v_addc_co_u32_e32 v2, vcc, v38, v6, vcc
	v_add_co_u32_e32 v3, vcc, v35, v54
	v_addc_co_u32_e32 v4, vcc, v36, v55, vcc
	v_cmp_ne_u64_e32 vcc, v[1:2], v[3:4]
	v_add_u32_e32 v1, 31, v10
	v_ashrrev_i32_e32 v2, 31, v1
	v_lshrrev_b32_e32 v2, 27, v2
	v_add_u32_e32 v1, v1, v2
	v_ashrrev_i32_e32 v1, 5, v1
	v_lshlrev_b32_e32 v1, 4, v1
	v_max_i32_e32 v1, s53, v1
	buffer_store_dword v1, off, s[0:3], s33 offset:188 ; 4-byte Folded Spill
	s_mov_b64 s[28:29], exec
	buffer_load_dword v58, off, s[0:3], s33 offset:136 ; 4-byte Folded Reload
	buffer_load_dword v38, off, s[0:3], s33 offset:132 ; 4-byte Folded Reload
	;; [unrolled: 1-line block ×5, first 2 shown]
	s_and_b64 s[40:41], s[28:29], vcc
	s_xor_b64 s[74:75], s[40:41], s[28:29]
	v_lshlrev_b32_e32 v35, 12, v62
	v_lshlrev_b32_e32 v36, 10, v62
	buffer_store_dword v10, off, s[0:3], s33 offset:72 ; 4-byte Folded Spill
	s_mov_b64 exec, s[40:41]
	s_cbranch_execz .LBB16_324
; %bb.74:                               ;   in Loop: Header=BB16_73 Depth=1
	buffer_load_dword v52, off, s[0:3], s33 offset:188 ; 4-byte Folded Reload
	v_mov_b32_e32 v0, 0
	v_mov_b32_e32 v57, 0
	s_and_saveexec_b64 s[76:77], s[26:27]
	s_cbranch_execz .LBB16_251
; %bb.75:                               ;   in Loop: Header=BB16_73 Depth=1
	buffer_load_dword v52, off, s[0:3], s33 offset:188 ; 4-byte Folded Reload
	s_mov_b32 s67, 1
	s_mov_b64 s[88:89], -1
	v_mov_b32_e32 v57, 0
	s_mov_b64 s[78:79], 0
	s_branch .LBB16_78
.LBB16_76:                              ;   in Loop: Header=BB16_78 Depth=2
	s_or_b64 exec, exec, s[40:41]
	s_waitcnt vmcnt(0)
	v_add_co_u32_e32 v48, vcc, 2, v48
	v_addc_co_u32_e32 v49, vcc, 0, v49, vcc
	flat_store_dwordx2 v[24:25], v[48:49]
.LBB16_77:                              ;   in Loop: Header=BB16_78 Depth=2
	s_or_b64 exec, exec, s[28:29]
	v_add_u32_e32 v57, v52, v57
	s_waitcnt vmcnt(0)
	v_cmp_ge_i32_e32 vcc, v57, v10
	s_xor_b64 s[28:29], s[88:89], -1
	s_or_b64 s[28:29], s[28:29], vcc
	s_and_b64 s[28:29], exec, s[28:29]
	s_or_b64 s[78:79], s[28:29], s[78:79]
	s_mov_b64 s[88:89], 0
	v_mov_b32_e32 v0, s67
	s_mov_b32 s67, 2
	s_andn2_b64 exec, exec, s[78:79]
	s_cbranch_execz .LBB16_250
.LBB16_78:                              ;   Parent Loop BB16_73 Depth=1
                                        ; =>  This Loop Header: Depth=2
                                        ;       Child Loop BB16_86 Depth 3
                                        ;       Child Loop BB16_110 Depth 3
	;; [unrolled: 1-line block ×9, first 2 shown]
                                        ;         Child Loop BB16_165 Depth 4
                                        ;       Child Loop BB16_174 Depth 3
                                        ;       Child Loop BB16_179 Depth 3
                                        ;         Child Loop BB16_180 Depth 4
                                        ;       Child Loop BB16_218 Depth 3
                                        ;       Child Loop BB16_237 Depth 3
	s_and_saveexec_b64 s[28:29], s[4:5]
	s_cbranch_execz .LBB16_80
; %bb.79:                               ;   in Loop: Header=BB16_78 Depth=2
	s_trap 2
	ds_read2_b64 v[0:3], v0 offset1:1
	buffer_load_dword v4, off, s[0:3], s33 offset:180 ; 4-byte Folded Reload
	buffer_load_dword v5, off, s[0:3], s33 offset:184 ; 4-byte Folded Reload
	s_waitcnt vmcnt(0) lgkmcnt(0)
	v_add_co_u32_e32 v0, vcc, v0, v4
	s_waitcnt vmcnt(0)
	v_addc_co_u32_e32 v1, vcc, v1, v5, vcc
	v_ashrrev_i32_e32 v4, 31, v57
	v_add_co_u32_e32 v0, vcc, v0, v57
	v_addc_co_u32_e32 v1, vcc, v1, v4, vcc
	ds_write_b64 v0, v[0:1]
	v_add_co_u32_e32 v0, vcc, v2, v54
	v_addc_co_u32_e32 v1, vcc, v3, v55, vcc
	v_add_co_u32_e32 v0, vcc, v0, v57
	v_addc_co_u32_e32 v1, vcc, v1, v4, vcc
	ds_write_b64 v0, v[0:1]
	ds_read_b64 v[0:1], v0
	s_waitcnt lgkmcnt(0)
	v_add_co_u32_e32 v2, vcc, v0, v54
	v_addc_co_u32_e32 v3, vcc, v1, v55, vcc
	v_add_co_u32_e32 v2, vcc, v2, v57
	v_addc_co_u32_e32 v3, vcc, v3, v4, vcc
	v_cmp_ne_u64_e32 vcc, 0, v[0:1]
	v_cndmask_b32_e32 v1, 0, v3, vcc
	v_cndmask_b32_e32 v0, 0, v2, vcc
	ds_write_b64 v0, v[0:1]
.LBB16_80:                              ;   in Loop: Header=BB16_78 Depth=2
	s_or_b64 exec, exec, s[28:29]
	v_sub_u32_e32 v0, v10, v57
	s_waitcnt vmcnt(0)
	v_min_i32_e32 v52, v52, v0
	v_and_b32_e32 v0, 8, v56
	v_cmp_ne_u32_e32 vcc, 0, v0
	s_and_saveexec_b64 s[40:41], vcc
	s_cbranch_execz .LBB16_102
; %bb.81:                               ;   in Loop: Header=BB16_78 Depth=2
	v_add_co_u32_e32 v0, vcc, 8, v32
	v_addc_co_u32_e32 v1, vcc, 0, v33, vcc
	v_add_co_u32_e32 v2, vcc, 2, v48
	v_addc_co_u32_e32 v3, vcc, 0, v49, vcc
	v_cmp_lt_u64_e32 vcc, v[0:1], v[2:3]
	s_and_saveexec_b64 s[42:43], vcc
	s_cbranch_execz .LBB16_93
; %bb.82:                               ;   in Loop: Header=BB16_78 Depth=2
	v_and_b32_e32 v0, 64, v56
	s_mov_b32 s68, 0
	v_cmp_eq_u32_e32 vcc, 0, v0
	s_mov_b64 s[90:91], 0
                                        ; implicit-def: $sgpr92_sgpr93
                                        ; implicit-def: $sgpr94_sgpr95
                                        ; implicit-def: $sgpr30_sgpr31
	s_branch .LBB16_86
.LBB16_83:                              ;   in Loop: Header=BB16_86 Depth=3
	s_waitcnt vmcnt(0) lgkmcnt(0)
	v_add_co_u32_e64 v4, s[28:29], 8, v32
	v_addc_co_u32_e64 v5, s[28:29], 0, v33, s[28:29]
	v_cmp_ge_u64_e64 s[28:29], v[4:5], v[2:3]
	s_or_b64 s[38:39], s[38:39], exec
	s_orn2_b64 s[36:37], s[28:29], exec
.LBB16_84:                              ;   in Loop: Header=BB16_86 Depth=3
	s_or_b64 exec, exec, s[50:51]
	s_andn2_b64 s[28:29], s[30:31], exec
	s_and_b64 s[30:31], s[38:39], exec
	s_or_b64 s[30:31], s[28:29], s[30:31]
	s_andn2_b64 s[28:29], s[94:95], exec
	s_and_b64 s[94:95], s[36:37], exec
	s_or_b64 s[94:95], s[28:29], s[94:95]
.LBB16_85:                              ;   in Loop: Header=BB16_86 Depth=3
	s_or_b64 exec, exec, s[34:35]
	s_and_b64 s[28:29], exec, s[94:95]
	s_or_b64 s[90:91], s[28:29], s[90:91]
	s_andn2_b64 s[28:29], s[92:93], exec
	s_and_b64 s[92:93], s[30:31], exec
	s_or_b64 s[92:93], s[28:29], s[92:93]
	s_andn2_b64 exec, exec, s[90:91]
	s_cbranch_execz .LBB16_90
.LBB16_86:                              ;   Parent Loop BB16_73 Depth=1
                                        ;     Parent Loop BB16_78 Depth=2
                                        ; =>    This Inner Loop Header: Depth=3
	s_sleep 1
	s_waitcnt vmcnt(0) lgkmcnt(0)
	flat_load_dwordx2 v[32:33], v[24:25] glc
	s_or_b64 s[30:31], s[30:31], exec
	s_or_b64 s[94:95], s[94:95], exec
                                        ; implicit-def: $vgpr0
	s_and_saveexec_b64 s[34:35], vcc
	s_cbranch_execz .LBB16_85
; %bb.87:                               ;   in Loop: Header=BB16_86 Depth=3
	s_cmpk_lt_i32 s68, 0x270f
	s_cselect_b64 s[48:49], -1, 0
	s_cmpk_gt_i32 s68, 0x270e
	s_mov_b64 s[36:37], -1
	s_cbranch_scc0 .LBB16_89
; %bb.88:                               ;   in Loop: Header=BB16_86 Depth=3
	s_trap 2
	ds_read_b64 v[0:1], v0
	s_andn2_b64 s[48:49], s[48:49], exec
	s_mov_b32 s68, 0
	s_mov_b64 s[38:39], 0
	s_waitcnt vmcnt(0) lgkmcnt(0)
	flat_load_dword v0, v[0:1] glc
	s_waitcnt vmcnt(0) lgkmcnt(0)
	buffer_wbinvl1_vol
	v_cmp_eq_u32_e64 s[28:29], 0, v0
	s_and_b64 s[28:29], s[28:29], exec
	s_or_b64 s[48:49], s[48:49], s[28:29]
	s_and_saveexec_b64 s[50:51], s[48:49]
	s_cbranch_execz .LBB16_84
	s_branch .LBB16_83
.LBB16_89:                              ;   in Loop: Header=BB16_86 Depth=3
	s_add_i32 s68, s68, 1
	s_mov_b64 s[38:39], -1
                                        ; implicit-def: $vgpr0
	s_and_saveexec_b64 s[50:51], s[48:49]
	s_cbranch_execz .LBB16_84
	s_branch .LBB16_83
.LBB16_90:                              ;   in Loop: Header=BB16_78 Depth=2
	s_or_b64 exec, exec, s[90:91]
	s_xor_b64 s[28:29], s[92:93], -1
	s_and_saveexec_b64 s[90:91], s[28:29]
	s_xor_b64 s[28:29], exec, s[90:91]
	s_cbranch_execz .LBB16_92
; %bb.91:                               ;   in Loop: Header=BB16_78 Depth=2
	v_or_b32_e32 v56, 64, v56
	s_waitcnt lgkmcnt(0)
	ds_write_b32 v0, v0
	s_trap 2
.LBB16_92:                              ;   in Loop: Header=BB16_78 Depth=2
	s_or_b64 exec, exec, s[28:29]
.LBB16_93:                              ;   in Loop: Header=BB16_78 Depth=2
	s_or_b64 exec, exec, s[42:43]
	v_and_b32_e32 v0, 0x100, v56
	v_cmp_ne_u32_e32 vcc, 0, v0
	v_and_b32_e32 v0, 7, v48
	s_mov_b64 s[28:29], -1
	;;#ASMSTART
	s_wakeup
	;;#ASMEND
                                        ; implicit-def: $vgpr4_vgpr5
	s_and_saveexec_b64 s[42:43], vcc
	s_cbranch_execz .LBB16_97
; %bb.94:                               ;   in Loop: Header=BB16_78 Depth=2
	v_mad_u64_u32 v[48:49], s[28:29], v0, 24, v[26:27]
	v_ashrrev_i32_e32 v53, 31, v52
                                        ; implicit-def: $vgpr4_vgpr5
	flat_load_dword v1, v[48:49]
	s_nop 0
	flat_store_dwordx2 v[48:49], v[52:53] offset:8
	s_waitcnt vmcnt(0) lgkmcnt(0)
	v_cmp_ne_u32_e32 vcc, 1, v1
	v_cmp_eq_u32_e64 s[28:29], 1, v1
	s_and_saveexec_b64 s[90:91], s[28:29]
	s_cbranch_execz .LBB16_96
; %bb.95:                               ;   in Loop: Header=BB16_78 Depth=2
	flat_load_dword v4, v[48:49] offset:4 glc
	s_waitcnt vmcnt(0) lgkmcnt(0)
	v_ashrrev_i32_e32 v5, 31, v4
.LBB16_96:                              ;   in Loop: Header=BB16_78 Depth=2
	s_or_b64 exec, exec, s[90:91]
	s_orn2_b64 s[28:29], vcc, exec
.LBB16_97:                              ;   in Loop: Header=BB16_78 Depth=2
	s_or_b64 exec, exec, s[42:43]
	s_and_saveexec_b64 s[42:43], s[28:29]
	s_cbranch_execz .LBB16_99
; %bb.98:                               ;   in Loop: Header=BB16_78 Depth=2
	buffer_load_dword v1, off, s[0:3], s33 offset:68 ; 4-byte Folded Reload
	s_waitcnt vmcnt(0)
	v_mad_i64_i32 v[4:5], s[28:29], v0, v1, 0
.LBB16_99:                              ;   in Loop: Header=BB16_78 Depth=2
	s_or_b64 exec, exec, s[42:43]
	v_add_co_u32_e32 v0, vcc, v60, v4
	v_addc_co_u32_e32 v1, vcc, v61, v5, vcc
	ds_write_b64 v0, v[0:1] offset:792
	v_and_b32_e32 v0, 0x2000, v56
	v_cmp_ne_u32_e32 vcc, 0, v0
	s_and_saveexec_b64 s[28:29], vcc
	s_cbranch_execz .LBB16_101
; %bb.100:                              ;   in Loop: Header=BB16_78 Depth=2
	ds_read_b64 v[0:1], v0 offset:872
	s_waitcnt lgkmcnt(0)
	v_add_co_u32_e32 v0, vcc, 1, v0
	v_addc_co_u32_e32 v1, vcc, 0, v1, vcc
	ds_write_b64 v0, v[0:1] offset:872
.LBB16_101:                             ;   in Loop: Header=BB16_78 Depth=2
	s_or_b64 exec, exec, s[28:29]
	v_mov_b32_e32 v49, v3
	v_mov_b32_e32 v48, v2
.LBB16_102:                             ;   in Loop: Header=BB16_78 Depth=2
	s_or_b64 exec, exec, s[40:41]
	s_and_saveexec_b64 s[28:29], s[12:13]
	s_cbranch_execz .LBB16_121
; %bb.103:                              ;   in Loop: Header=BB16_78 Depth=2
	s_and_saveexec_b64 s[40:41], s[58:59]
	s_xor_b64 s[40:41], exec, s[40:41]
	s_cbranch_execz .LBB16_118
; %bb.104:                              ;   in Loop: Header=BB16_78 Depth=2
	s_and_saveexec_b64 s[42:43], s[6:7]
	s_cbranch_execz .LBB16_117
; %bb.105:                              ;   in Loop: Header=BB16_78 Depth=2
	s_mov_b64 s[92:93], exec
	v_mbcnt_lo_u32_b32 v0, s92, 0
	v_mbcnt_hi_u32_b32 v0, s93, v0
	v_cmp_eq_u32_e32 vcc, 0, v0
	s_waitcnt vmcnt(0) lgkmcnt(0)
	buffer_wbinvl1_vol
	s_and_saveexec_b64 s[90:91], vcc
	s_cbranch_execz .LBB16_107
; %bb.106:                              ;   in Loop: Header=BB16_78 Depth=2
	s_bcnt1_i32_b64 s92, s[92:93]
	v_mov_b32_e32 v17, s92
	ds_add_u64 v0, v[17:18]
	s_trap 2
.LBB16_107:                             ;   in Loop: Header=BB16_78 Depth=2
	s_or_b64 exec, exec, s[90:91]
	s_trap 2
	ds_read_b64 v[0:1], v0
	s_waitcnt lgkmcnt(0)
	v_add_co_u32_e32 v28, vcc, v28, v62
	v_addc_co_u32_e32 v29, vcc, 0, v29, vcc
	v_cmp_lt_u64_e32 vcc, v[0:1], v[28:29]
	s_and_saveexec_b64 s[90:91], vcc
	s_cbranch_execz .LBB16_116
; %bb.108:                              ;   in Loop: Header=BB16_78 Depth=2
	s_mov_b32 s38, 0
	s_mov_b64 s[92:93], 0
                                        ; implicit-def: $sgpr94_sgpr95
                                        ; implicit-def: $sgpr30_sgpr31
	s_branch .LBB16_110
.LBB16_109:                             ;   in Loop: Header=BB16_110 Depth=3
	s_or_b64 exec, exec, s[36:37]
	s_and_b64 vcc, exec, vcc
	s_or_b64 s[92:93], vcc, s[92:93]
	s_andn2_b64 s[94:95], s[94:95], exec
	s_and_b64 vcc, s[30:31], exec
	s_or_b64 s[94:95], s[94:95], vcc
	s_andn2_b64 exec, exec, s[92:93]
	s_cbranch_execz .LBB16_114
.LBB16_110:                             ;   Parent Loop BB16_73 Depth=1
                                        ;     Parent Loop BB16_78 Depth=2
                                        ; =>    This Inner Loop Header: Depth=3
	s_add_i32 s38, s38, 1
	s_cmpk_lg_i32 s38, 0x2710
	s_cselect_b64 s[34:35], -1, 0
	s_and_b64 vcc, exec, s[34:35]
	s_cbranch_vccz .LBB16_112
; %bb.111:                              ;   in Loop: Header=BB16_110 Depth=3
	s_mov_b64 vcc, -1
	s_or_b64 s[30:31], s[30:31], exec
	s_and_saveexec_b64 s[36:37], s[34:35]
	s_cbranch_execz .LBB16_109
	s_branch .LBB16_113
.LBB16_112:                             ;   in Loop: Header=BB16_110 Depth=3
	s_trap 2
	ds_read_b64 v[0:1], v0
	s_andn2_b64 s[34:35], s[34:35], exec
	s_mov_b32 s38, 0
	s_waitcnt lgkmcnt(0)
	flat_load_dword v0, v[0:1] glc
	s_waitcnt vmcnt(0) lgkmcnt(0)
	buffer_wbinvl1_vol
	v_cmp_eq_u32_e32 vcc, 0, v0
	s_and_b64 vcc, vcc, exec
	s_or_b64 s[34:35], s[34:35], vcc
	s_mov_b64 vcc, -1
	s_or_b64 s[30:31], s[30:31], exec
	s_and_saveexec_b64 s[36:37], s[34:35]
	s_cbranch_execz .LBB16_109
.LBB16_113:                             ;   in Loop: Header=BB16_110 Depth=3
	s_sleep 1
	s_trap 2
	ds_read_b64 v[0:1], v0
	s_waitcnt lgkmcnt(0)
	s_andn2_b64 s[30:31], s[30:31], exec
	v_cmp_ge_u64_e32 vcc, v[0:1], v[28:29]
	s_orn2_b64 vcc, vcc, exec
	s_branch .LBB16_109
.LBB16_114:                             ;   in Loop: Header=BB16_78 Depth=2
	s_or_b64 exec, exec, s[92:93]
	s_and_saveexec_b64 s[92:93], s[94:95]
	s_xor_b64 s[92:93], exec, s[92:93]
	s_cbranch_execz .LBB16_116
; %bb.115:                              ;   in Loop: Header=BB16_78 Depth=2
	ds_write_b32 v0, v13
	s_trap 2
.LBB16_116:                             ;   in Loop: Header=BB16_78 Depth=2
	s_or_b64 exec, exec, s[90:91]
	;;#ASMSTART
	s_wakeup
	;;#ASMEND
.LBB16_117:                             ;   in Loop: Header=BB16_78 Depth=2
	s_or_b64 exec, exec, s[42:43]
.LBB16_118:                             ;   in Loop: Header=BB16_78 Depth=2
	s_andn2_saveexec_b64 s[40:41], s[40:41]
	s_cbranch_execz .LBB16_120
; %bb.119:                              ;   in Loop: Header=BB16_78 Depth=2
	s_waitcnt vmcnt(0) lgkmcnt(0)
	buffer_wbinvl1_vol
	s_barrier
.LBB16_120:                             ;   in Loop: Header=BB16_78 Depth=2
	s_or_b64 exec, exec, s[40:41]
.LBB16_121:                             ;   in Loop: Header=BB16_78 Depth=2
	s_or_b64 exec, exec, s[28:29]
	s_trap 2
	ds_read_b32 v0, v0
	v_and_b32_e32 v1, 0x4000, v56
	v_cmp_ne_u32_e32 vcc, 0, v1
	s_xor_b64 s[28:29], s[10:11], -1
	s_and_b64 s[40:41], s[28:29], vcc
	s_and_saveexec_b64 s[28:29], s[40:41]
	s_cbranch_execz .LBB16_140
; %bb.122:                              ;   in Loop: Header=BB16_78 Depth=2
	s_and_saveexec_b64 s[40:41], s[58:59]
	s_xor_b64 s[40:41], exec, s[40:41]
	s_cbranch_execz .LBB16_137
; %bb.123:                              ;   in Loop: Header=BB16_78 Depth=2
	s_and_saveexec_b64 s[42:43], s[6:7]
	s_cbranch_execz .LBB16_136
; %bb.124:                              ;   in Loop: Header=BB16_78 Depth=2
	s_mov_b64 s[92:93], exec
	v_mbcnt_lo_u32_b32 v1, s92, 0
	v_mbcnt_hi_u32_b32 v1, s93, v1
	v_cmp_eq_u32_e32 vcc, 0, v1
	s_waitcnt vmcnt(0) lgkmcnt(0)
	buffer_wbinvl1_vol
	s_and_saveexec_b64 s[90:91], vcc
	s_cbranch_execz .LBB16_126
; %bb.125:                              ;   in Loop: Header=BB16_78 Depth=2
	s_bcnt1_i32_b64 s92, s[92:93]
	v_mov_b32_e32 v17, s92
	ds_add_u64 v0, v[17:18]
	s_trap 2
.LBB16_126:                             ;   in Loop: Header=BB16_78 Depth=2
	s_or_b64 exec, exec, s[90:91]
	s_trap 2
	ds_read_b64 v[1:2], v0
	s_waitcnt lgkmcnt(0)
	v_add_co_u32_e32 v28, vcc, v28, v62
	v_addc_co_u32_e32 v29, vcc, 0, v29, vcc
	v_cmp_lt_u64_e32 vcc, v[1:2], v[28:29]
	s_and_saveexec_b64 s[90:91], vcc
	s_cbranch_execz .LBB16_135
; %bb.127:                              ;   in Loop: Header=BB16_78 Depth=2
	s_mov_b32 s38, 0
	s_mov_b64 s[92:93], 0
                                        ; implicit-def: $sgpr94_sgpr95
                                        ; implicit-def: $sgpr30_sgpr31
	s_branch .LBB16_129
.LBB16_128:                             ;   in Loop: Header=BB16_129 Depth=3
	s_or_b64 exec, exec, s[36:37]
	s_and_b64 vcc, exec, vcc
	s_or_b64 s[92:93], vcc, s[92:93]
	s_andn2_b64 s[94:95], s[94:95], exec
	s_and_b64 vcc, s[30:31], exec
	s_or_b64 s[94:95], s[94:95], vcc
	s_andn2_b64 exec, exec, s[92:93]
	s_cbranch_execz .LBB16_133
.LBB16_129:                             ;   Parent Loop BB16_73 Depth=1
                                        ;     Parent Loop BB16_78 Depth=2
                                        ; =>    This Inner Loop Header: Depth=3
	s_add_i32 s38, s38, 1
	s_cmpk_lg_i32 s38, 0x2710
	s_cselect_b64 s[34:35], -1, 0
	s_and_b64 vcc, exec, s[34:35]
	s_cbranch_vccz .LBB16_131
; %bb.130:                              ;   in Loop: Header=BB16_129 Depth=3
	s_mov_b64 vcc, -1
	s_or_b64 s[30:31], s[30:31], exec
	s_and_saveexec_b64 s[36:37], s[34:35]
	s_cbranch_execz .LBB16_128
	s_branch .LBB16_132
.LBB16_131:                             ;   in Loop: Header=BB16_129 Depth=3
	s_trap 2
	ds_read_b64 v[1:2], v0
	s_andn2_b64 s[34:35], s[34:35], exec
	s_mov_b32 s38, 0
	s_waitcnt lgkmcnt(0)
	flat_load_dword v1, v[1:2] glc
	s_waitcnt vmcnt(0) lgkmcnt(0)
	buffer_wbinvl1_vol
	v_cmp_eq_u32_e32 vcc, 0, v1
	s_and_b64 vcc, vcc, exec
	s_or_b64 s[34:35], s[34:35], vcc
	s_mov_b64 vcc, -1
	s_or_b64 s[30:31], s[30:31], exec
	s_and_saveexec_b64 s[36:37], s[34:35]
	s_cbranch_execz .LBB16_128
.LBB16_132:                             ;   in Loop: Header=BB16_129 Depth=3
	s_sleep 1
	s_trap 2
	ds_read_b64 v[1:2], v0
	s_waitcnt lgkmcnt(0)
	s_andn2_b64 s[30:31], s[30:31], exec
	v_cmp_ge_u64_e32 vcc, v[1:2], v[28:29]
	s_orn2_b64 vcc, vcc, exec
	s_branch .LBB16_128
.LBB16_133:                             ;   in Loop: Header=BB16_78 Depth=2
	s_or_b64 exec, exec, s[92:93]
	s_and_saveexec_b64 s[92:93], s[94:95]
	s_xor_b64 s[92:93], exec, s[92:93]
	s_cbranch_execz .LBB16_135
; %bb.134:                              ;   in Loop: Header=BB16_78 Depth=2
	ds_write_b32 v0, v13
	s_trap 2
.LBB16_135:                             ;   in Loop: Header=BB16_78 Depth=2
	s_or_b64 exec, exec, s[90:91]
	;;#ASMSTART
	s_wakeup
	;;#ASMEND
.LBB16_136:                             ;   in Loop: Header=BB16_78 Depth=2
	s_or_b64 exec, exec, s[42:43]
.LBB16_137:                             ;   in Loop: Header=BB16_78 Depth=2
	s_andn2_saveexec_b64 s[40:41], s[40:41]
	s_cbranch_execz .LBB16_139
; %bb.138:                              ;   in Loop: Header=BB16_78 Depth=2
	s_waitcnt vmcnt(0) lgkmcnt(0)
	buffer_wbinvl1_vol
	s_barrier
.LBB16_139:                             ;   in Loop: Header=BB16_78 Depth=2
	s_or_b64 exec, exec, s[40:41]
.LBB16_140:                             ;   in Loop: Header=BB16_78 Depth=2
	s_or_b64 exec, exec, s[28:29]
	s_trap 2
	s_waitcnt lgkmcnt(0)
	ds_read_b64 v[40:41], v0
	s_waitcnt lgkmcnt(0)
	v_cmp_eq_u64_e32 vcc, 0, v[40:41]
	s_cbranch_vccnz .LBB16_149
; %bb.141:                              ;   in Loop: Header=BB16_78 Depth=2
	s_trap 2
	ds_read_b64 v[42:43], v0
	s_waitcnt lgkmcnt(0)
	v_cmp_eq_u64_e32 vcc, 0, v[42:43]
	s_cbranch_vccnz .LBB16_149
; %bb.142:                              ;   in Loop: Header=BB16_78 Depth=2
	buffer_store_dword v48, off, s[0:3], s33 offset:60 ; 4-byte Folded Spill
	s_nop 0
	buffer_store_dword v49, off, s[0:3], s33 offset:64 ; 4-byte Folded Spill
	s_trap 2
	ds_read_b64 v[44:45], v0
	v_cmp_eq_u32_e64 s[28:29], 0, v0
	v_cndmask_b32_e64 v34, 0, v52, s[28:29]
	s_waitcnt lgkmcnt(0)
	v_cmp_ne_u64_e32 vcc, 0, v[44:45]
	s_cbranch_vccz .LBB16_155
; %bb.143:                              ;   in Loop: Header=BB16_78 Depth=2
	s_mov_b64 s[40:41], -1
	s_and_saveexec_b64 s[28:29], s[14:15]
	s_cbranch_execz .LBB16_145
; %bb.144:                              ;   in Loop: Header=BB16_78 Depth=2
	ds_read_b32 v0, v0 offset:720
	s_waitcnt lgkmcnt(0)
	v_and_b32_e32 v0, 15, v0
	v_cmp_eq_u32_e32 vcc, 0, v0
	s_orn2_b64 s[40:41], vcc, exec
.LBB16_145:                             ;   in Loop: Header=BB16_78 Depth=2
	s_or_b64 exec, exec, s[28:29]
	s_and_saveexec_b64 s[28:29], s[16:17]
	s_cbranch_execz .LBB16_147
; %bb.146:                              ;   in Loop: Header=BB16_78 Depth=2
	ds_read_b32 v0, v0 offset:784
	s_waitcnt lgkmcnt(0)
	v_and_b32_e32 v0, 15, v0
	v_cmp_eq_u32_e32 vcc, 0, v0
	s_and_b64 s[42:43], s[40:41], vcc
	s_andn2_b64 s[40:41], s[40:41], exec
	s_and_b64 s[42:43], s[42:43], exec
	s_or_b64 s[40:41], s[40:41], s[42:43]
.LBB16_147:                             ;   in Loop: Header=BB16_78 Depth=2
	s_or_b64 exec, exec, s[28:29]
	s_xor_b64 s[40:41], s[40:41], -1
	v_cndmask_b32_e64 v0, 0, 1, s[40:41]
	s_mov_b64 s[28:29], -1
	v_mov_b32_e32 v53, 0
	v_cmp_ne_u32_e32 vcc, 0, v0
	v_mov_b32_e32 v46, v34
	v_mov_b32_e32 v47, v11
	;; [unrolled: 1-line block ×3, first 2 shown]
	s_cbranch_vccz .LBB16_157
; %bb.148:                              ;   in Loop: Header=BB16_78 Depth=2
	s_and_saveexec_b64 s[42:43], s[28:29]
	s_cbranch_execnz .LBB16_172
	s_branch .LBB16_182
.LBB16_149:                             ;   in Loop: Header=BB16_78 Depth=2
	s_mov_b64 s[28:29], 0
	s_and_saveexec_b64 s[40:41], s[12:13]
	s_cbranch_execnz .LBB16_211
.LBB16_150:                             ;   in Loop: Header=BB16_78 Depth=2
	s_or_b64 exec, exec, s[40:41]
                                        ; implicit-def: $vgpr0
	s_and_saveexec_b64 s[40:41], s[18:19]
	s_xor_b64 s[40:41], exec, s[40:41]
	s_cbranch_execz .LBB16_229
.LBB16_151:                             ;   in Loop: Header=BB16_78 Depth=2
	v_and_b32_e32 v1, 16, v56
	v_cmp_ne_u32_e32 vcc, 0, v1
	v_and_b32_e32 v0, 16, v56
	s_and_b64 s[42:43], vcc, s[28:29]
	s_and_saveexec_b64 s[28:29], s[42:43]
	s_cbranch_execz .LBB16_153
; %bb.152:                              ;   in Loop: Header=BB16_78 Depth=2
	v_mov_b32_e32 v0, 1
	s_waitcnt vmcnt(0) lgkmcnt(0)
	buffer_wbinvl1_vol
.LBB16_153:                             ;   in Loop: Header=BB16_78 Depth=2
	s_or_b64 exec, exec, s[28:29]
	s_andn2_saveexec_b64 s[28:29], s[40:41]
	s_cbranch_execnz .LBB16_230
.LBB16_154:                             ;   in Loop: Header=BB16_78 Depth=2
	s_or_b64 exec, exec, s[28:29]
	v_cmp_ne_u32_e32 vcc, 0, v0
	s_and_saveexec_b64 s[28:29], vcc
	s_cbranch_execz .LBB16_77
	s_branch .LBB16_248
.LBB16_155:                             ;   in Loop: Header=BB16_78 Depth=2
	buffer_load_dword v48, off, s[0:3], s33 offset:60 ; 4-byte Folded Reload
	buffer_load_dword v49, off, s[0:3], s33 offset:64 ; 4-byte Folded Reload
	s_cbranch_execnz .LBB16_183
.LBB16_156:                             ;   in Loop: Header=BB16_78 Depth=2
	v_cmp_lt_i32_e64 s[28:29], 0, v34
	s_and_saveexec_b64 s[40:41], s[12:13]
	s_cbranch_execnz .LBB16_211
	s_branch .LBB16_150
.LBB16_157:                             ;   in Loop: Header=BB16_78 Depth=2
	v_ashrrev_i32_e32 v0, 31, v34
	v_lshrrev_b32_e32 v0, 20, v0
	v_add_u32_e32 v0, v34, v0
	v_ashrrev_i32_e32 v0, 12, v0
	v_sub_u32_e32 v1, v0, v38
	v_cmp_lt_i32_e32 vcc, 0, v1
	s_and_saveexec_b64 s[28:29], vcc
	s_cbranch_execz .LBB16_161
; %bb.158:                              ;   in Loop: Header=BB16_78 Depth=2
	buffer_load_dword v6, off, s[0:3], s33 offset:192 ; 4-byte Folded Reload
	buffer_load_dword v7, off, s[0:3], s33 offset:196 ; 4-byte Folded Reload
	v_mov_b32_e32 v23, v11
	s_mov_b64 s[40:41], 0
	s_waitcnt vmcnt(0)
	v_add_co_u32_e32 v2, vcc, v40, v6
	v_addc_co_u32_e32 v3, vcc, v41, v7, vcc
	v_add_co_u32_e32 v4, vcc, v42, v6
	v_addc_co_u32_e32 v5, vcc, v43, v7, vcc
	;; [unrolled: 2-line block ×3, first 2 shown]
.LBB16_159:                             ;   Parent Loop BB16_73 Depth=1
                                        ;     Parent Loop BB16_78 Depth=2
                                        ; =>    This Inner Loop Header: Depth=3
	global_load_dwordx4 v[6:9], v[2:3], off glc slc
	global_load_dwordx4 v[10:13], v[2:3], off offset:1024 glc slc
	global_load_dwordx4 v[14:17], v[2:3], off offset:2048 glc slc
	;; [unrolled: 1-line block ×3, first 2 shown]
	v_add_co_u32_e32 v2, vcc, v2, v35
	v_addc_co_u32_e32 v3, vcc, 0, v3, vcc
	v_sub_u32_e32 v1, v1, v62
	v_cmp_gt_i32_e32 vcc, 1, v1
	s_or_b64 s[40:41], vcc, s[40:41]
	s_waitcnt vmcnt(3)
	global_store_dwordx4 v[4:5], v[6:9], off glc slc
	s_waitcnt vmcnt(3)
	global_store_dwordx4 v[4:5], v[10:13], off offset:1024 glc slc
	s_waitcnt vmcnt(3)
	global_store_dwordx4 v[4:5], v[14:17], off offset:2048 glc slc
	;; [unrolled: 2-line block ×3, first 2 shown]
	global_store_dwordx4 v[46:47], v[6:9], off glc slc
	global_store_dwordx4 v[46:47], v[10:13], off offset:1024 glc slc
	global_store_dwordx4 v[46:47], v[14:17], off offset:2048 glc slc
	;; [unrolled: 1-line block ×3, first 2 shown]
	v_add_co_u32_e32 v4, vcc, v4, v35
	v_addc_co_u32_e32 v5, vcc, 0, v5, vcc
	v_add_co_u32_e32 v46, vcc, v46, v35
	v_addc_co_u32_e32 v47, vcc, 0, v47, vcc
	s_andn2_b64 exec, exec, s[40:41]
	s_cbranch_execnz .LBB16_159
; %bb.160:                              ;   in Loop: Header=BB16_78 Depth=2
	s_or_b64 exec, exec, s[40:41]
	buffer_load_dword v22, off, s[0:3], s33 offset:96 ; 4-byte Folded Reload
	buffer_load_dword v16, off, s[0:3], s33 offset:92 ; 4-byte Folded Reload
	;; [unrolled: 1-line block ×8, first 2 shown]
	v_mov_b32_e32 v13, 1
	v_mov_b32_e32 v11, v23
.LBB16_161:                             ;   in Loop: Header=BB16_78 Depth=2
	s_or_b64 exec, exec, s[28:29]
	v_lshlrev_b32_e32 v0, 12, v0
	v_cmp_ne_u32_e32 vcc, v34, v0
	s_mov_b64 s[28:29], 0
	v_mov_b32_e32 v53, 0
                                        ; implicit-def: $vgpr46
                                        ; implicit-def: $vgpr47
                                        ; implicit-def: $vgpr2
	s_and_saveexec_b64 s[90:91], vcc
	s_cbranch_execz .LBB16_171
; %bb.162:                              ;   in Loop: Header=BB16_78 Depth=2
	buffer_load_dword v2, off, s[0:3], s33 offset:168 ; 4-byte Folded Reload
	v_lshlrev_b32_e32 v1, 6, v1
	v_sub_u32_e32 v3, v34, v0
	v_ashrrev_i32_e32 v5, 31, v3
	v_lshrrev_b32_e32 v5, 22, v5
	v_add_u32_e32 v5, v3, v5
	v_and_b32_e32 v6, 0xfffffc00, v5
	v_sub_u32_e32 v8, v3, v6
	v_ashrrev_i32_e32 v7, 10, v5
	v_cmp_lt_i32_e64 s[28:29], 15, v8
	s_waitcnt vmcnt(0)
	v_sub_u32_e32 v1, v2, v1
	v_ashrrev_i32_e32 v2, 31, v1
	v_lshrrev_b32_e32 v2, 26, v2
	v_add_u32_e32 v2, v1, v2
	v_ashrrev_i32_e32 v4, 6, v2
	v_and_b32_e32 v2, 0xffffffc0, v2
	v_sub_u32_e32 v1, v1, v2
	v_lshlrev_b32_e32 v2, 4, v1
	v_lshl_add_u32 v2, v4, 10, v2
	v_sub_u32_e32 v9, v3, v2
	v_addc_co_u32_e64 v3, vcc, 0, v7, s[28:29]
	v_sub_u32_e32 v7, v3, v4
	v_cmp_lt_i32_e32 vcc, 15, v9
	s_and_saveexec_b64 s[92:93], vcc
	s_cbranch_execz .LBB16_168
; %bb.163:                              ;   in Loop: Header=BB16_78 Depth=2
	v_add_u32_e32 v2, v2, v0
	v_ashrrev_i32_e32 v3, 31, v2
	v_add_co_u32_e32 v46, vcc, v2, v40
	v_addc_co_u32_e32 v47, vcc, v3, v41, vcc
	v_add_co_u32_e32 v10, vcc, v2, v42
	v_mov_b32_e32 v17, v11
	v_addc_co_u32_e32 v11, vcc, v3, v43, vcc
	v_add_co_u32_e32 v12, vcc, v2, v44
	v_addc_co_u32_e32 v13, vcc, v3, v45, vcc
	s_mov_b64 s[94:95], 0
.LBB16_164:                             ;   Parent Loop BB16_73 Depth=1
                                        ;     Parent Loop BB16_78 Depth=2
                                        ; =>    This Loop Header: Depth=3
                                        ;         Child Loop BB16_165 Depth 4
	global_load_dwordx4 v[2:5], v[46:47], off glc slc
	s_mov_b64 s[30:31], -1
	s_mov_b64 s[34:35], 0
	s_waitcnt vmcnt(0)
.LBB16_165:                             ;   Parent Loop BB16_73 Depth=1
                                        ;     Parent Loop BB16_78 Depth=2
                                        ;       Parent Loop BB16_164 Depth=3
                                        ; =>      This Inner Loop Header: Depth=4
	s_cmp_eq_u32 s34, 1
	s_cselect_b64 s[40:41], -1, 0
	v_cndmask_b32_e64 v15, v11, v13, s[40:41]
	v_cndmask_b32_e64 v14, v10, v12, s[40:41]
	global_store_dwordx4 v[14:15], v[2:5], off glc slc
	v_add_co_u32_e32 v14, vcc, 0x400, v14
	s_cmp_eq_u32 s34, 0
	v_addc_co_u32_e32 v15, vcc, 0, v15, vcc
	s_cselect_b64 vcc, -1, 0
	s_and_b64 s[42:43], exec, s[30:31]
	s_mov_b64 s[34:35], 1
	v_cndmask_b32_e64 v12, v12, v14, s[40:41]
	s_mov_b64 s[30:31], 0
	v_cndmask_b32_e64 v13, v13, v15, s[40:41]
	v_cndmask_b32_e32 v11, v11, v15, vcc
	v_cndmask_b32_e32 v10, v10, v14, vcc
	s_mov_b64 vcc, s[42:43]
	s_cbranch_vccnz .LBB16_165
; %bb.166:                              ;   in Loop: Header=BB16_164 Depth=3
	v_add_co_u32_e32 v10, vcc, v10, v37
	v_addc_co_u32_e32 v11, vcc, v11, v51, vcc
	v_add_co_u32_e32 v12, vcc, v12, v37
	v_addc_co_u32_e32 v13, vcc, v13, v51, vcc
	;; [unrolled: 2-line block ×3, first 2 shown]
	v_sub_u32_e32 v9, v9, v36
	v_cmp_gt_i32_e32 vcc, 16, v9
	s_or_b64 s[94:95], vcc, s[94:95]
	v_sub_u32_e32 v7, v7, v62
	s_andn2_b64 exec, exec, s[94:95]
	s_cbranch_execnz .LBB16_164
; %bb.167:                              ;   in Loop: Header=BB16_78 Depth=2
	s_or_b64 exec, exec, s[94:95]
	buffer_load_dword v15, off, s[0:3], s33 offset:84 ; 4-byte Folded Reload
	buffer_load_dword v14, off, s[0:3], s33 offset:80 ; 4-byte Folded Reload
	;; [unrolled: 1-line block ×4, first 2 shown]
	v_mov_b32_e32 v13, 1
	v_mov_b32_e32 v11, v17
.LBB16_168:                             ;   in Loop: Header=BB16_78 Depth=2
	s_or_b64 exec, exec, s[92:93]
	v_and_b32_e32 v3, 15, v34
	v_cndmask_b32_e64 v46, v8, v3, s[28:29]
	v_mov_b32_e32 v53, 0
	v_cmp_ne_u32_e32 vcc, 0, v46
	s_mov_b64 s[42:43], 0
                                        ; implicit-def: $vgpr47
                                        ; implicit-def: $vgpr2
	s_and_saveexec_b64 s[40:41], vcc
	s_cbranch_execz .LBB16_170
; %bb.169:                              ;   in Loop: Header=BB16_78 Depth=2
	v_sub_u32_e32 v2, v8, v3
	v_cndmask_b32_e64 v2, 0, v2, s[28:29]
	v_cmp_lt_i32_e32 vcc, 0, v7
	v_add3_u32 v53, v6, v0, v2
	v_cndmask_b32_e32 v0, 0, v62, vcc
	v_sub_u32_e32 v0, v0, v7
	v_lshl_add_u32 v47, v0, 6, v1
	v_ashrrev_i32_e32 v0, 31, v47
	v_lshrrev_b32_e32 v0, 26, v0
	v_add_u32_e32 v0, v47, v0
	v_ashrrev_i32_e32 v2, 6, v0
	s_mov_b64 s[42:43], exec
.LBB16_170:                             ;   in Loop: Header=BB16_78 Depth=2
	s_or_b64 exec, exec, s[40:41]
	s_and_b64 s[28:29], s[42:43], exec
.LBB16_171:                             ;   in Loop: Header=BB16_78 Depth=2
	s_or_b64 exec, exec, s[90:91]
	s_and_saveexec_b64 s[42:43], s[28:29]
	s_cbranch_execz .LBB16_182
.LBB16_172:                             ;   in Loop: Header=BB16_78 Depth=2
	v_ashrrev_i32_e32 v0, 31, v46
	v_lshrrev_b32_e32 v0, 21, v0
	v_add_u32_e32 v0, v46, v0
	v_ashrrev_i32_e32 v49, 11, v0
	v_sub_u32_e32 v21, v49, v2
	v_ashrrev_i32_e32 v0, 31, v47
	v_cmp_lt_i32_e32 vcc, 0, v21
	v_lshrrev_b32_e32 v1, 26, v0
	s_and_saveexec_b64 s[28:29], vcc
	s_cbranch_execz .LBB16_176
; %bb.173:                              ;   in Loop: Header=BB16_78 Depth=2
	buffer_store_dword v28, off, s[0:3], s33 offset:148 ; 4-byte Folded Spill
	s_nop 0
	buffer_store_dword v29, off, s[0:3], s33 offset:152 ; 4-byte Folded Spill
	buffer_load_dword v39, off, s[0:3], s33 offset:144 ; 4-byte Folded Reload
	v_add_u32_e32 v0, v47, v1
	v_and_b32_e32 v0, 0xffffffc0, v0
	v_mov_b32_e32 v48, v1
	v_sub_u32_e32 v0, v47, v0
	v_lshlrev_b32_e32 v1, 11, v2
	v_add3_u32 v0, v53, v0, v1
	v_ashrrev_i32_e32 v1, 31, v0
	v_add_co_u32_e32 v2, vcc, v0, v42
	v_addc_co_u32_e32 v3, vcc, v1, v43, vcc
	v_add_co_u32_e32 v4, vcc, v0, v44
	v_addc_co_u32_e32 v5, vcc, v1, v45, vcc
	;; [unrolled: 2-line block ×4, first 2 shown]
	s_mov_b64 s[40:41], 0
.LBB16_174:                             ;   Parent Loop BB16_73 Depth=1
                                        ;     Parent Loop BB16_78 Depth=2
                                        ; =>    This Inner Loop Header: Depth=3
	v_add_co_u32_e32 v0, vcc, 0xfffff840, v44
	v_addc_co_u32_e32 v1, vcc, -1, v45, vcc
	flat_load_ubyte v50, v[0:1] glc slc
	v_add_co_u32_e32 v0, vcc, 0xfffff880, v44
	v_addc_co_u32_e32 v1, vcc, -1, v45, vcc
	flat_load_ubyte v51, v[0:1] glc slc
	;; [unrolled: 3-line block ×4, first 2 shown]
	v_add_co_u32_e32 v0, vcc, 0xfffff940, v44
	v_addc_co_u32_e32 v1, vcc, -1, v45, vcc
	v_add_co_u32_e32 v6, vcc, 0xfffff980, v44
	v_addc_co_u32_e32 v7, vcc, -1, v45, vcc
	flat_load_ubyte v38, v[6:7] glc slc
	v_add_co_u32_e32 v6, vcc, 0xfffff9c0, v44
	v_addc_co_u32_e32 v7, vcc, -1, v45, vcc
	s_waitcnt vmcnt(0)
	flat_load_ubyte v22, v[6:7] glc slc
	v_add_co_u32_e32 v6, vcc, 0xfffffa00, v44
	v_addc_co_u32_e32 v7, vcc, -1, v45, vcc
	flat_load_ubyte v16, v[6:7] glc slc
	v_add_co_u32_e32 v6, vcc, 0xfffffa40, v44
	v_addc_co_u32_e32 v7, vcc, -1, v45, vcc
	flat_load_ubyte v20, v[6:7] glc slc
	v_add_co_u32_e32 v6, vcc, 0xfffffa80, v44
	v_addc_co_u32_e32 v7, vcc, -1, v45, vcc
	flat_load_ubyte v36, v[6:7] glc slc
	v_add_co_u32_e32 v6, vcc, 0xfffffac0, v44
	v_addc_co_u32_e32 v7, vcc, -1, v45, vcc
	flat_load_ubyte v60, v[6:7] glc slc
	v_add_co_u32_e32 v6, vcc, 0xfffffb00, v44
	v_addc_co_u32_e32 v7, vcc, -1, v45, vcc
	flat_load_ubyte v37, v[6:7] glc slc
	v_add_co_u32_e32 v6, vcc, 0xfffffb40, v44
	v_addc_co_u32_e32 v7, vcc, -1, v45, vcc
	flat_load_ubyte v19, v[6:7] glc slc
	v_add_co_u32_e32 v6, vcc, 0xfffffb80, v44
	v_addc_co_u32_e32 v7, vcc, -1, v45, vcc
	flat_load_ubyte v8, v[6:7] glc slc
	v_add_co_u32_e32 v6, vcc, 0xfffffbc0, v44
	v_addc_co_u32_e32 v7, vcc, -1, v45, vcc
	flat_load_ubyte v9, v[6:7] glc slc
	v_add_co_u32_e32 v6, vcc, s55, v44
	v_addc_co_u32_e32 v7, vcc, -1, v45, vcc
	flat_load_ubyte v28, v[6:7] glc slc
	v_add_co_u32_e32 v6, vcc, 0xfffffc40, v44
	v_addc_co_u32_e32 v7, vcc, -1, v45, vcc
	flat_load_ubyte v29, v[6:7] glc slc
	v_add_co_u32_e32 v6, vcc, 0xfffffc80, v44
	v_addc_co_u32_e32 v7, vcc, -1, v45, vcc
	flat_load_ubyte v12, v[6:7] glc slc
	v_add_co_u32_e32 v6, vcc, 0xfffffcc0, v44
	v_addc_co_u32_e32 v7, vcc, -1, v45, vcc
	flat_load_ubyte v13, v[6:7] glc slc
	v_add_co_u32_e32 v6, vcc, 0xfffffd00, v44
	v_addc_co_u32_e32 v7, vcc, -1, v45, vcc
	flat_load_ubyte v59, v[6:7] glc slc
	v_add_co_u32_e32 v6, vcc, 0xfffffd40, v44
	v_addc_co_u32_e32 v7, vcc, -1, v45, vcc
	v_add_co_u32_e32 v10, vcc, 0xfffffd80, v44
	v_addc_co_u32_e32 v11, vcc, -1, v45, vcc
	flat_load_ubyte v58, v[10:11] glc slc
	v_add_co_u32_e32 v10, vcc, 0xfffffdc0, v44
	v_addc_co_u32_e32 v11, vcc, -1, v45, vcc
	flat_load_ubyte v31, v[10:11] glc slc
	;; [unrolled: 3-line block ×3, first 2 shown]
	v_sub_u32_e32 v21, v21, v62
	flat_load_ubyte v1, v[10:11] glc slc
	v_add_co_u32_e32 v10, vcc, 0xfffffe40, v44
	v_addc_co_u32_e32 v11, vcc, -1, v45, vcc
	v_add_co_u32_e32 v14, vcc, 0xfffffe80, v44
	v_addc_co_u32_e32 v15, vcc, -1, v45, vcc
	flat_load_ubyte v10, v[10:11] glc slc
	s_nop 0
	flat_load_ubyte v11, v[14:15] glc slc
	v_add_co_u32_e32 v14, vcc, 0xfffffec0, v44
	v_addc_co_u32_e32 v15, vcc, -1, v45, vcc
	flat_load_ubyte v26, v[14:15] glc slc
	v_add_co_u32_e32 v14, vcc, 0xffffff00, v44
	v_addc_co_u32_e32 v15, vcc, -1, v45, vcc
	;; [unrolled: 3-line block ×5, first 2 shown]
	flat_load_ubyte v7, v[6:7] glc slc
	s_nop 0
	flat_load_ubyte v30, v[14:15] glc slc
	flat_load_ubyte v6, v[44:45] glc slc
	s_waitcnt lgkmcnt(0)
	flat_store_byte v[2:3], v50 glc slc
	flat_store_byte v[2:3], v51 offset:64 glc slc
	flat_store_byte v[2:3], v61 offset:128 glc slc
	;; [unrolled: 1-line block ×3, first 2 shown]
	s_waitcnt vmcnt(0)
	flat_store_byte v[2:3], v0 offset:256 glc slc
	flat_store_byte v[2:3], v38 offset:320 glc slc
	;; [unrolled: 1-line block ×28, first 2 shown]
	flat_store_byte v[4:5], v50 glc slc
	flat_store_byte v[4:5], v51 offset:64 glc slc
	flat_store_byte v[4:5], v61 offset:128 glc slc
	;; [unrolled: 1-line block ×31, first 2 shown]
	v_add_co_u32_e32 v2, vcc, v2, v39
	v_addc_co_u32_e32 v3, vcc, 0, v3, vcc
	v_add_co_u32_e32 v4, vcc, v4, v39
	v_addc_co_u32_e32 v5, vcc, 0, v5, vcc
	;; [unrolled: 2-line block ×3, first 2 shown]
	v_cmp_gt_i32_e32 vcc, 1, v21
	s_or_b64 s[40:41], vcc, s[40:41]
	s_andn2_b64 exec, exec, s[40:41]
	s_cbranch_execnz .LBB16_174
; %bb.175:                              ;   in Loop: Header=BB16_78 Depth=2
	s_or_b64 exec, exec, s[40:41]
	buffer_load_dword v11, off, s[0:3], s33 offset:156 ; 4-byte Folded Reload
	buffer_load_dword v26, off, s[0:3], s33 offset:108 ; 4-byte Folded Reload
	;; [unrolled: 1-line block ×23, first 2 shown]
	v_lshlrev_b32_e32 v35, 12, v62
	v_lshlrev_b32_e32 v36, 10, v62
	v_mov_b32_e32 v13, 1
	v_mov_b32_e32 v39, 0xd0
	v_mov_b32_e32 v50, 0x88
	v_mov_b32_e32 v1, v48
.LBB16_176:                             ;   in Loop: Header=BB16_78 Depth=2
	s_or_b64 exec, exec, s[28:29]
	v_lshlrev_b32_e32 v0, 11, v49
	v_cmp_ne_u32_e32 vcc, v46, v0
	s_and_b64 exec, exec, vcc
	s_cbranch_execz .LBB16_182
; %bb.177:                              ;   in Loop: Header=BB16_78 Depth=2
	v_add_u32_e32 v1, v47, v1
	v_and_b32_e32 v1, 0xffffffc0, v1
	v_sub_u32_e32 v1, v47, v1
	v_lshlrev_b32_e32 v2, 6, v21
	v_sub_u32_e32 v1, v1, v2
	v_add_u32_e32 v1, v0, v1
	v_sub_u32_e32 v0, v46, v1
	v_cmp_lt_i32_e32 vcc, 0, v0
	s_and_b64 exec, exec, vcc
	s_cbranch_execz .LBB16_182
; %bb.178:                              ;   in Loop: Header=BB16_78 Depth=2
	s_trap 2
	ds_read_b64 v[2:3], v0
	ds_read_b128 v[4:7], v0
	v_add_u32_e32 v8, v1, v53
	v_ashrrev_i32_e32 v9, 31, v8
	s_mov_b64 s[90:91], 0
	s_waitcnt lgkmcnt(0)
	v_add_co_u32_e32 v2, vcc, v2, v8
	v_addc_co_u32_e32 v3, vcc, v3, v9, vcc
	v_add_co_u32_e32 v1, vcc, v4, v8
	v_addc_co_u32_e32 v4, vcc, v5, v9, vcc
	v_add_co_u32_e32 v5, vcc, v6, v8
	v_addc_co_u32_e32 v6, vcc, v7, v9, vcc
.LBB16_179:                             ;   Parent Loop BB16_73 Depth=1
                                        ;     Parent Loop BB16_78 Depth=2
                                        ; =>    This Loop Header: Depth=3
                                        ;         Child Loop BB16_180 Depth 4
	flat_load_ubyte v7, v[2:3] glc slc
	s_mov_b64 s[92:93], -1
	s_mov_b64 s[94:95], 0
	s_waitcnt vmcnt(0)
.LBB16_180:                             ;   Parent Loop BB16_73 Depth=1
                                        ;     Parent Loop BB16_78 Depth=2
                                        ;       Parent Loop BB16_179 Depth=3
                                        ; =>      This Inner Loop Header: Depth=4
	s_cmp_eq_u32 s94, 1
	s_cselect_b64 vcc, -1, 0
	v_cndmask_b32_e32 v9, v4, v6, vcc
	v_cndmask_b32_e32 v8, v1, v5, vcc
	s_waitcnt lgkmcnt(0)
	flat_store_byte v[8:9], v7 glc slc
	v_add_co_u32_e64 v8, s[28:29], 64, v8
	s_cmp_eq_u32 s94, 0
	v_addc_co_u32_e64 v9, s[28:29], 0, v9, s[28:29]
	s_cselect_b64 s[28:29], -1, 0
	s_and_b64 s[40:41], exec, s[92:93]
	s_mov_b64 s[94:95], 1
	s_mov_b64 s[92:93], 0
	v_cndmask_b32_e32 v6, v6, v9, vcc
	v_cndmask_b32_e32 v5, v5, v8, vcc
	v_cndmask_b32_e64 v4, v4, v9, s[28:29]
	v_cndmask_b32_e64 v1, v1, v8, s[28:29]
	s_mov_b64 vcc, s[40:41]
	s_cbranch_vccnz .LBB16_180
; %bb.181:                              ;   in Loop: Header=BB16_179 Depth=3
	v_add_co_u32_e32 v1, vcc, v1, v20
	v_addc_co_u32_e32 v4, vcc, v4, v15, vcc
	v_add_co_u32_e32 v5, vcc, v5, v20
	v_addc_co_u32_e32 v6, vcc, v6, v15, vcc
	v_sub_u32_e32 v0, v0, v19
	v_cmp_gt_i32_e32 vcc, 1, v0
	s_or_b64 s[90:91], vcc, s[90:91]
	v_add_co_u32_e32 v2, vcc, v14, v2
	v_addc_co_u32_e32 v3, vcc, v12, v3, vcc
	s_andn2_b64 exec, exec, s[90:91]
	s_cbranch_execnz .LBB16_179
.LBB16_182:                             ;   in Loop: Header=BB16_78 Depth=2
	s_or_b64 exec, exec, s[42:43]
	buffer_load_dword v48, off, s[0:3], s33 offset:60 ; 4-byte Folded Reload
	buffer_load_dword v49, off, s[0:3], s33 offset:64 ; 4-byte Folded Reload
	s_branch .LBB16_156
.LBB16_183:                             ;   in Loop: Header=BB16_78 Depth=2
	s_mov_b64 s[28:29], -1
	s_and_saveexec_b64 s[40:41], s[14:15]
	s_cbranch_execz .LBB16_185
; %bb.184:                              ;   in Loop: Header=BB16_78 Depth=2
	ds_read_b32 v0, v0 offset:720
	s_waitcnt lgkmcnt(0)
	v_and_b32_e32 v0, 15, v0
	v_cmp_eq_u32_e32 vcc, 0, v0
	s_orn2_b64 s[28:29], vcc, exec
.LBB16_185:                             ;   in Loop: Header=BB16_78 Depth=2
	s_or_b64 exec, exec, s[40:41]
	s_and_saveexec_b64 s[40:41], s[14:15]
	s_cbranch_execz .LBB16_187
; %bb.186:                              ;   in Loop: Header=BB16_78 Depth=2
	ds_read_b32 v0, v0 offset:784
	s_waitcnt lgkmcnt(0)
	v_and_b32_e32 v0, 15, v0
	v_cmp_eq_u32_e32 vcc, 0, v0
	s_and_b64 s[42:43], s[28:29], vcc
	s_andn2_b64 s[28:29], s[28:29], exec
	s_and_b64 s[42:43], s[42:43], exec
	s_or_b64 s[28:29], s[28:29], s[42:43]
.LBB16_187:                             ;   in Loop: Header=BB16_78 Depth=2
	s_or_b64 exec, exec, s[40:41]
	s_xor_b64 s[28:29], s[28:29], -1
	v_cndmask_b32_e64 v1, 0, 1, s[28:29]
	s_mov_b64 s[42:43], -1
	v_mov_b32_e32 v0, 0
	v_cmp_ne_u32_e32 vcc, 0, v1
	v_mov_b32_e32 v1, v34
	s_waitcnt vmcnt(0)
	v_mov_b32_e32 v2, v11
	v_mov_b32_e32 v5, v38
	s_cbranch_vccz .LBB16_189
; %bb.188:                              ;   in Loop: Header=BB16_78 Depth=2
	s_and_saveexec_b64 s[28:29], s[42:43]
	s_cbranch_execnz .LBB16_202
	s_branch .LBB16_210
.LBB16_189:                             ;   in Loop: Header=BB16_78 Depth=2
	v_ashrrev_i32_e32 v0, 31, v34
	v_lshrrev_b32_e32 v0, 19, v0
	v_add_u32_e32 v0, v34, v0
	v_ashrrev_i32_e32 v0, 13, v0
	v_sub_u32_e32 v6, v0, v38
	v_cmp_lt_i32_e32 vcc, 0, v6
	s_and_saveexec_b64 s[40:41], vcc
	s_cbranch_execz .LBB16_193
; %bb.190:                              ;   in Loop: Header=BB16_78 Depth=2
	buffer_store_dword v28, off, s[0:3], s33 offset:148 ; 4-byte Folded Spill
	s_nop 0
	buffer_store_dword v29, off, s[0:3], s33 offset:152 ; 4-byte Folded Spill
	buffer_load_dword v1, off, s[0:3], s33 offset:172 ; 4-byte Folded Reload
	buffer_load_dword v17, off, s[0:3], s33 offset:176 ; 4-byte Folded Reload
	v_mov_b32_e32 v2, v42
	v_mov_b32_e32 v4, v40
	s_mov_b64 s[42:43], 0
	v_mov_b32_e32 v3, v43
	v_mov_b32_e32 v5, v41
	v_lshlrev_b32_e32 v23, 13, v62
.LBB16_191:                             ;   Parent Loop BB16_73 Depth=1
                                        ;     Parent Loop BB16_78 Depth=2
                                        ; =>    This Inner Loop Header: Depth=3
	s_waitcnt vmcnt(0)
	v_add_co_u32_e32 v15, vcc, v1, v4
	v_addc_co_u32_e32 v16, vcc, v17, v5, vcc
	global_load_dwordx4 v[7:10], v[15:16], off glc slc
	global_load_dwordx4 v[11:14], v[15:16], off offset:1024 glc slc
	global_load_dwordx4 v[19:22], v[15:16], off offset:2048 glc slc
	global_load_dwordx4 v[26:29], v[15:16], off offset:3072 glc slc
	v_add_co_u32_e32 v15, vcc, s65, v15
	v_addc_co_u32_e32 v16, vcc, 0, v16, vcc
	global_load_dwordx4 v[35:38], v[15:16], off glc slc
	global_load_dwordx4 v[48:51], v[15:16], off offset:1024 glc slc
	global_load_dwordx4 v[44:47], v[15:16], off offset:2048 glc slc
	;; [unrolled: 1-line block ×3, first 2 shown]
	v_add_co_u32_e32 v15, vcc, v1, v2
	v_addc_co_u32_e32 v16, vcc, v17, v3, vcc
	v_add_co_u32_e32 v4, vcc, v4, v23
	v_addc_co_u32_e32 v5, vcc, 0, v5, vcc
	v_sub_u32_e32 v6, v6, v62
	v_add_co_u32_e32 v2, vcc, v2, v23
	v_addc_co_u32_e32 v3, vcc, 0, v3, vcc
	v_cmp_gt_i32_e64 s[28:29], 1, v6
	v_add_co_u32_e32 v30, vcc, s65, v15
	s_or_b64 s[42:43], s[28:29], s[42:43]
	v_addc_co_u32_e32 v31, vcc, 0, v16, vcc
	s_waitcnt vmcnt(0)
	global_store_dwordx4 v[15:16], v[7:10], off glc slc
	global_store_dwordx4 v[15:16], v[11:14], off offset:1024 glc slc
	global_store_dwordx4 v[15:16], v[19:22], off offset:2048 glc slc
	;; [unrolled: 1-line block ×3, first 2 shown]
	global_store_dwordx4 v[30:31], v[35:38], off glc slc
	global_store_dwordx4 v[30:31], v[48:51], off offset:1024 glc slc
	global_store_dwordx4 v[30:31], v[44:47], off offset:2048 glc slc
	;; [unrolled: 1-line block ×3, first 2 shown]
	s_andn2_b64 exec, exec, s[42:43]
	s_cbranch_execnz .LBB16_191
; %bb.192:                              ;   in Loop: Header=BB16_78 Depth=2
	s_or_b64 exec, exec, s[42:43]
	buffer_load_dword v11, off, s[0:3], s33 offset:156 ; 4-byte Folded Reload
	buffer_load_dword v26, off, s[0:3], s33 offset:108 ; 4-byte Folded Reload
	;; [unrolled: 1-line block ×25, first 2 shown]
	v_lshlrev_b32_e32 v35, 12, v62
	v_lshlrev_b32_e32 v36, 10, v62
	v_mov_b32_e32 v13, 1
	v_mov_b32_e32 v39, 0xd0
	;; [unrolled: 1-line block ×3, first 2 shown]
.LBB16_193:                             ;   in Loop: Header=BB16_78 Depth=2
	s_or_b64 exec, exec, s[40:41]
	v_lshlrev_b32_e32 v3, 13, v0
	v_cmp_ne_u32_e32 vcc, v34, v3
	s_mov_b64 s[42:43], 0
	v_mov_b32_e32 v0, 0
                                        ; implicit-def: $vgpr1
                                        ; implicit-def: $vgpr2
                                        ; implicit-def: $vgpr5
	s_and_saveexec_b64 s[40:41], vcc
	s_cbranch_execz .LBB16_201
; %bb.194:                              ;   in Loop: Header=BB16_78 Depth=2
	buffer_load_dword v1, off, s[0:3], s33 offset:168 ; 4-byte Folded Reload
	v_lshlrev_b32_e32 v0, 6, v6
	v_sub_u32_e32 v2, v34, v3
	v_ashrrev_i32_e32 v6, 31, v2
	v_lshrrev_b32_e32 v6, 22, v6
	v_add_u32_e32 v6, v2, v6
	v_ashrrev_i32_e32 v7, 10, v6
	v_and_b32_e32 v6, 0xfffffc00, v6
	v_sub_u32_e32 v8, v2, v6
	v_cmp_lt_i32_e32 vcc, 15, v8
	s_waitcnt vmcnt(0)
	v_sub_u32_e32 v0, v1, v0
	v_ashrrev_i32_e32 v1, 31, v0
	v_lshrrev_b32_e32 v1, 26, v1
	v_add_u32_e32 v1, v0, v1
	v_ashrrev_i32_e32 v5, 6, v1
	v_and_b32_e32 v1, 0xffffffc0, v1
	v_sub_u32_e32 v4, v0, v1
	v_lshlrev_b32_e32 v0, 4, v4
	v_lshl_add_u32 v1, v5, 10, v0
	v_sub_u32_e32 v0, v2, v1
	v_addc_co_u32_e64 v2, s[28:29], 0, v7, vcc
	v_sub_u32_e32 v7, v2, v5
	v_cmp_lt_i32_e64 s[28:29], 15, v0
	s_and_saveexec_b64 s[42:43], s[28:29]
	s_cbranch_execz .LBB16_198
; %bb.195:                              ;   in Loop: Header=BB16_78 Depth=2
	v_add_u32_e32 v1, v1, v3
	v_mov_b32_e32 v5, v11
	v_ashrrev_i32_e32 v2, 31, v1
	s_mov_b64 s[90:91], 0
.LBB16_196:                             ;   Parent Loop BB16_73 Depth=1
                                        ;     Parent Loop BB16_78 Depth=2
                                        ; =>    This Inner Loop Header: Depth=3
	v_add_co_u32_e64 v9, s[28:29], v40, v1
	v_addc_co_u32_e64 v10, s[28:29], v41, v2, s[28:29]
	global_load_dwordx4 v[9:12], v[9:10], off glc slc
	v_add_co_u32_e64 v13, s[28:29], v42, v1
	v_addc_co_u32_e64 v14, s[28:29], v43, v2, s[28:29]
	v_add_co_u32_e64 v1, s[28:29], v1, v22
	v_sub_u32_e32 v0, v0, v36
	v_addc_co_u32_e64 v2, s[28:29], v2, v16, s[28:29]
	v_cmp_gt_i32_e64 s[28:29], 16, v0
	v_sub_u32_e32 v7, v7, v62
	s_or_b64 s[90:91], s[28:29], s[90:91]
	s_waitcnt vmcnt(0)
	global_store_dwordx4 v[13:14], v[9:12], off glc slc
	s_andn2_b64 exec, exec, s[90:91]
	s_cbranch_execnz .LBB16_196
; %bb.197:                              ;   in Loop: Header=BB16_78 Depth=2
	s_or_b64 exec, exec, s[90:91]
	buffer_load_dword v14, off, s[0:3], s33 offset:80 ; 4-byte Folded Reload
	buffer_load_dword v12, off, s[0:3], s33 offset:76 ; 4-byte Folded Reload
	;; [unrolled: 1-line block ×3, first 2 shown]
	v_mov_b32_e32 v13, 1
	v_mov_b32_e32 v11, v5
.LBB16_198:                             ;   in Loop: Header=BB16_78 Depth=2
	s_or_b64 exec, exec, s[42:43]
	v_and_b32_e32 v9, 15, v34
	v_cndmask_b32_e32 v1, v8, v9, vcc
	v_mov_b32_e32 v0, 0
	v_cmp_ne_u32_e64 s[28:29], 0, v1
	s_mov_b64 s[90:91], 0
                                        ; implicit-def: $vgpr2
                                        ; implicit-def: $vgpr5
	s_and_saveexec_b64 s[42:43], s[28:29]
	s_cbranch_execz .LBB16_200
; %bb.199:                              ;   in Loop: Header=BB16_78 Depth=2
	v_sub_u32_e32 v0, v8, v9
	v_cndmask_b32_e32 v0, 0, v0, vcc
	v_cmp_lt_i32_e32 vcc, 0, v7
	v_cndmask_b32_e32 v2, 0, v62, vcc
	v_sub_u32_e32 v2, v2, v7
	v_lshl_add_u32 v2, v2, 6, v4
	v_add3_u32 v0, v6, v3, v0
	v_ashrrev_i32_e32 v3, 31, v2
	v_lshrrev_b32_e32 v3, 26, v3
	v_add_u32_e32 v3, v2, v3
	v_ashrrev_i32_e32 v5, 6, v3
	s_mov_b64 s[90:91], exec
.LBB16_200:                             ;   in Loop: Header=BB16_78 Depth=2
	s_or_b64 exec, exec, s[42:43]
	s_and_b64 s[42:43], s[90:91], exec
.LBB16_201:                             ;   in Loop: Header=BB16_78 Depth=2
	s_or_b64 exec, exec, s[40:41]
	s_and_saveexec_b64 s[28:29], s[42:43]
	s_cbranch_execz .LBB16_210
.LBB16_202:                             ;   in Loop: Header=BB16_78 Depth=2
	v_ashrrev_i32_e32 v3, 31, v1
	v_lshrrev_b32_e32 v3, 21, v3
	v_add_u32_e32 v3, v1, v3
	v_ashrrev_i32_e32 v4, 11, v3
	v_sub_u32_e32 v3, v4, v5
	v_cmp_lt_i32_e32 vcc, 0, v3
	s_and_saveexec_b64 s[40:41], vcc
	s_cbranch_execz .LBB16_206
; %bb.203:                              ;   in Loop: Header=BB16_78 Depth=2
	s_waitcnt vmcnt(0)
	buffer_store_dword v28, off, s[0:3], s33 offset:148 ; 4-byte Folded Spill
	s_nop 0
	buffer_store_dword v29, off, s[0:3], s33 offset:152 ; 4-byte Folded Spill
	buffer_load_dword v39, off, s[0:3], s33 offset:144 ; 4-byte Folded Reload
	v_ashrrev_i32_e32 v6, 31, v2
	v_lshrrev_b32_e32 v6, 26, v6
	v_add_u32_e32 v6, v2, v6
	v_and_b32_e32 v6, 0xffffffc0, v6
	v_sub_u32_e32 v6, v2, v6
	v_lshlrev_b32_e32 v5, 11, v5
	v_add3_u32 v5, v0, v6, v5
	v_mov_b32_e32 v47, v11
	v_ashrrev_i32_e32 v6, 31, v5
	s_mov_b64 s[42:43], 0
.LBB16_204:                             ;   Parent Loop BB16_73 Depth=1
                                        ;     Parent Loop BB16_78 Depth=2
                                        ; =>    This Inner Loop Header: Depth=3
	v_add_co_u32_e32 v7, vcc, v5, v40
	v_addc_co_u32_e32 v8, vcc, v6, v41, vcc
	flat_load_ubyte v9, v[7:8] glc slc
	flat_load_ubyte v10, v[7:8] offset:64 glc slc
	flat_load_ubyte v11, v[7:8] offset:128 glc slc
	;; [unrolled: 1-line block ×31, first 2 shown]
	v_add_co_u32_e32 v7, vcc, v5, v42
	v_addc_co_u32_e32 v8, vcc, v6, v43, vcc
	s_waitcnt vmcnt(0)
	v_add_co_u32_e32 v40, vcc, v40, v39
	v_addc_co_u32_e32 v41, vcc, 0, v41, vcc
	v_add_co_u32_e32 v42, vcc, v42, v39
	v_sub_u32_e32 v3, v3, v62
	v_addc_co_u32_e32 v43, vcc, 0, v43, vcc
	v_cmp_gt_i32_e32 vcc, 1, v3
	s_or_b64 s[42:43], vcc, s[42:43]
	s_waitcnt lgkmcnt(0)
	flat_store_byte v[7:8], v9 glc slc
	flat_store_byte v[7:8], v10 offset:64 glc slc
	flat_store_byte v[7:8], v11 offset:128 glc slc
	;; [unrolled: 1-line block ×31, first 2 shown]
	s_andn2_b64 exec, exec, s[42:43]
	s_cbranch_execnz .LBB16_204
; %bb.205:                              ;   in Loop: Header=BB16_78 Depth=2
	s_or_b64 exec, exec, s[42:43]
	buffer_load_dword v26, off, s[0:3], s33 offset:108 ; 4-byte Folded Reload
	buffer_load_dword v27, off, s[0:3], s33 offset:112 ; 4-byte Folded Reload
	;; [unrolled: 1-line block ×22, first 2 shown]
	v_lshlrev_b32_e32 v35, 12, v62
	v_lshlrev_b32_e32 v36, 10, v62
	v_mov_b32_e32 v13, 1
	v_mov_b32_e32 v39, 0xd0
	;; [unrolled: 1-line block ×4, first 2 shown]
.LBB16_206:                             ;   in Loop: Header=BB16_78 Depth=2
	s_or_b64 exec, exec, s[40:41]
	v_lshlrev_b32_e32 v4, 11, v4
	v_cmp_ne_u32_e32 vcc, v1, v4
	s_and_b64 exec, exec, vcc
	s_cbranch_execz .LBB16_210
; %bb.207:                              ;   in Loop: Header=BB16_78 Depth=2
	v_ashrrev_i32_e32 v5, 31, v2
	v_lshrrev_b32_e32 v5, 26, v5
	v_add_u32_e32 v5, v2, v5
	v_and_b32_e32 v5, 0xffffffc0, v5
	v_sub_u32_e32 v2, v2, v5
	v_lshlrev_b32_e32 v3, 6, v3
	v_sub_u32_e32 v2, v2, v3
	v_add_u32_e32 v2, v4, v2
	v_sub_u32_e32 v1, v1, v2
	v_cmp_lt_i32_e32 vcc, 0, v1
	s_and_b64 exec, exec, vcc
	s_cbranch_execz .LBB16_210
; %bb.208:                              ;   in Loop: Header=BB16_78 Depth=2
	v_add_u32_e32 v0, v2, v0
	s_trap 2
	ds_read_b64 v[2:3], v0
	v_ashrrev_i32_e32 v4, 31, v0
	s_mov_b64 s[40:41], 0
.LBB16_209:                             ;   Parent Loop BB16_73 Depth=1
                                        ;     Parent Loop BB16_78 Depth=2
                                        ; =>    This Inner Loop Header: Depth=3
	s_waitcnt lgkmcnt(0)
	v_add_co_u32_e32 v5, vcc, v2, v0
	v_addc_co_u32_e32 v6, vcc, v3, v4, vcc
	flat_load_ubyte v7, v[5:6] glc slc
	s_waitcnt vmcnt(0)
	v_add_co_u32_e32 v0, vcc, v0, v14
	v_sub_u32_e32 v1, v1, v19
	v_addc_co_u32_e32 v4, vcc, v4, v12, vcc
	v_cmp_gt_i32_e32 vcc, 1, v1
	s_or_b64 s[40:41], vcc, s[40:41]
	s_waitcnt lgkmcnt(0)
	flat_store_byte v[5:6], v7 glc slc
	s_andn2_b64 exec, exec, s[40:41]
	s_cbranch_execnz .LBB16_209
.LBB16_210:                             ;   in Loop: Header=BB16_78 Depth=2
	s_or_b64 exec, exec, s[28:29]
	v_cmp_lt_i32_e64 s[28:29], 0, v34
	s_and_saveexec_b64 s[40:41], s[12:13]
	s_cbranch_execz .LBB16_150
.LBB16_211:                             ;   in Loop: Header=BB16_78 Depth=2
	s_and_saveexec_b64 s[42:43], s[58:59]
	s_xor_b64 s[42:43], exec, s[42:43]
	s_cbranch_execz .LBB16_226
; %bb.212:                              ;   in Loop: Header=BB16_78 Depth=2
	s_and_saveexec_b64 s[90:91], s[6:7]
	s_cbranch_execz .LBB16_225
; %bb.213:                              ;   in Loop: Header=BB16_78 Depth=2
	s_mov_b64 s[94:95], exec
	v_mbcnt_lo_u32_b32 v0, s94, 0
	v_mbcnt_hi_u32_b32 v0, s95, v0
	v_cmp_eq_u32_e32 vcc, 0, v0
	s_waitcnt vmcnt(0) lgkmcnt(0)
	buffer_wbinvl1_vol
	s_and_saveexec_b64 s[92:93], vcc
	s_cbranch_execz .LBB16_215
; %bb.214:                              ;   in Loop: Header=BB16_78 Depth=2
	s_bcnt1_i32_b64 s94, s[94:95]
	v_mov_b32_e32 v17, s94
	ds_add_u64 v0, v[17:18]
	s_trap 2
.LBB16_215:                             ;   in Loop: Header=BB16_78 Depth=2
	s_or_b64 exec, exec, s[92:93]
	s_trap 2
	ds_read_b64 v[0:1], v0
	s_waitcnt lgkmcnt(0)
	v_add_co_u32_e32 v28, vcc, v28, v62
	v_addc_co_u32_e32 v29, vcc, 0, v29, vcc
	v_cmp_lt_u64_e32 vcc, v[0:1], v[28:29]
	s_and_saveexec_b64 s[92:93], vcc
	s_cbranch_execz .LBB16_224
; %bb.216:                              ;   in Loop: Header=BB16_78 Depth=2
	s_mov_b32 s48, 0
	s_mov_b64 s[94:95], 0
                                        ; implicit-def: $sgpr30_sgpr31
                                        ; implicit-def: $sgpr34_sgpr35
	s_branch .LBB16_218
.LBB16_217:                             ;   in Loop: Header=BB16_218 Depth=3
	s_or_b64 exec, exec, s[38:39]
	s_and_b64 vcc, exec, vcc
	s_or_b64 s[94:95], vcc, s[94:95]
	s_andn2_b64 vcc, s[30:31], exec
	s_and_b64 s[30:31], s[34:35], exec
	s_or_b64 s[30:31], vcc, s[30:31]
	s_andn2_b64 exec, exec, s[94:95]
	s_cbranch_execz .LBB16_222
.LBB16_218:                             ;   Parent Loop BB16_73 Depth=1
                                        ;     Parent Loop BB16_78 Depth=2
                                        ; =>    This Inner Loop Header: Depth=3
	s_add_i32 s48, s48, 1
	s_cmpk_lg_i32 s48, 0x2710
	s_cselect_b64 s[36:37], -1, 0
	s_and_b64 vcc, exec, s[36:37]
	s_cbranch_vccz .LBB16_220
; %bb.219:                              ;   in Loop: Header=BB16_218 Depth=3
	s_mov_b64 vcc, -1
	s_or_b64 s[34:35], s[34:35], exec
	s_and_saveexec_b64 s[38:39], s[36:37]
	s_cbranch_execz .LBB16_217
	s_branch .LBB16_221
.LBB16_220:                             ;   in Loop: Header=BB16_218 Depth=3
	s_trap 2
	ds_read_b64 v[0:1], v0
	s_andn2_b64 s[36:37], s[36:37], exec
	s_mov_b32 s48, 0
	s_waitcnt lgkmcnt(0)
	flat_load_dword v0, v[0:1] glc
	s_waitcnt vmcnt(0) lgkmcnt(0)
	buffer_wbinvl1_vol
	v_cmp_eq_u32_e32 vcc, 0, v0
	s_and_b64 vcc, vcc, exec
	s_or_b64 s[36:37], s[36:37], vcc
	s_mov_b64 vcc, -1
	s_or_b64 s[34:35], s[34:35], exec
	s_and_saveexec_b64 s[38:39], s[36:37]
	s_cbranch_execz .LBB16_217
.LBB16_221:                             ;   in Loop: Header=BB16_218 Depth=3
	s_sleep 1
	s_trap 2
	ds_read_b64 v[0:1], v0
	s_waitcnt lgkmcnt(0)
	s_andn2_b64 s[34:35], s[34:35], exec
	v_cmp_ge_u64_e32 vcc, v[0:1], v[28:29]
	s_orn2_b64 vcc, vcc, exec
	s_branch .LBB16_217
.LBB16_222:                             ;   in Loop: Header=BB16_78 Depth=2
	s_or_b64 exec, exec, s[94:95]
	s_and_saveexec_b64 s[94:95], s[30:31]
	s_xor_b64 s[94:95], exec, s[94:95]
	s_cbranch_execz .LBB16_224
; %bb.223:                              ;   in Loop: Header=BB16_78 Depth=2
	ds_write_b32 v0, v13
	s_trap 2
.LBB16_224:                             ;   in Loop: Header=BB16_78 Depth=2
	s_or_b64 exec, exec, s[92:93]
	;;#ASMSTART
	s_wakeup
	;;#ASMEND
.LBB16_225:                             ;   in Loop: Header=BB16_78 Depth=2
	s_or_b64 exec, exec, s[90:91]
.LBB16_226:                             ;   in Loop: Header=BB16_78 Depth=2
	s_andn2_saveexec_b64 s[42:43], s[42:43]
	s_cbranch_execz .LBB16_228
; %bb.227:                              ;   in Loop: Header=BB16_78 Depth=2
	s_waitcnt vmcnt(0) lgkmcnt(0)
	buffer_wbinvl1_vol
	s_barrier
.LBB16_228:                             ;   in Loop: Header=BB16_78 Depth=2
	s_or_b64 exec, exec, s[42:43]
	s_or_b64 exec, exec, s[40:41]
                                        ; implicit-def: $vgpr0
	s_and_saveexec_b64 s[40:41], s[18:19]
	s_xor_b64 s[40:41], exec, s[40:41]
	s_cbranch_execnz .LBB16_151
.LBB16_229:                             ;   in Loop: Header=BB16_78 Depth=2
	s_andn2_saveexec_b64 s[28:29], s[40:41]
	s_cbranch_execz .LBB16_154
.LBB16_230:                             ;   in Loop: Header=BB16_78 Depth=2
	s_and_saveexec_b64 s[40:41], s[58:59]
	s_xor_b64 s[40:41], exec, s[40:41]
	s_cbranch_execz .LBB16_245
; %bb.231:                              ;   in Loop: Header=BB16_78 Depth=2
	s_and_saveexec_b64 s[42:43], s[6:7]
	s_cbranch_execz .LBB16_244
; %bb.232:                              ;   in Loop: Header=BB16_78 Depth=2
	s_mov_b64 s[92:93], exec
	v_mbcnt_lo_u32_b32 v0, s92, 0
	v_mbcnt_hi_u32_b32 v0, s93, v0
	v_cmp_eq_u32_e32 vcc, 0, v0
	;;#ASMSTART
	s_waitcnt lgkmcnt(0) vmcnt(0)
	;;#ASMEND
	s_and_saveexec_b64 s[90:91], vcc
	s_cbranch_execz .LBB16_234
; %bb.233:                              ;   in Loop: Header=BB16_78 Depth=2
	s_bcnt1_i32_b64 s92, s[92:93]
	v_mov_b32_e32 v17, s92
	s_waitcnt lgkmcnt(0)
	ds_add_u64 v0, v[17:18]
	s_trap 2
.LBB16_234:                             ;   in Loop: Header=BB16_78 Depth=2
	s_or_b64 exec, exec, s[90:91]
	s_trap 2
	ds_read_b64 v[0:1], v0
	s_waitcnt vmcnt(0) lgkmcnt(0)
	v_add_co_u32_e32 v28, vcc, v28, v62
	v_addc_co_u32_e32 v29, vcc, 0, v29, vcc
	v_cmp_lt_u64_e32 vcc, v[0:1], v[28:29]
	s_and_saveexec_b64 s[90:91], vcc
	s_cbranch_execz .LBB16_243
; %bb.235:                              ;   in Loop: Header=BB16_78 Depth=2
	s_mov_b32 s38, 0
	s_mov_b64 s[92:93], 0
                                        ; implicit-def: $sgpr94_sgpr95
                                        ; implicit-def: $sgpr30_sgpr31
	s_branch .LBB16_237
.LBB16_236:                             ;   in Loop: Header=BB16_237 Depth=3
	s_or_b64 exec, exec, s[36:37]
	s_and_b64 vcc, exec, vcc
	s_or_b64 s[92:93], vcc, s[92:93]
	s_andn2_b64 s[94:95], s[94:95], exec
	s_and_b64 vcc, s[30:31], exec
	s_or_b64 s[94:95], s[94:95], vcc
	s_andn2_b64 exec, exec, s[92:93]
	s_cbranch_execz .LBB16_241
.LBB16_237:                             ;   Parent Loop BB16_73 Depth=1
                                        ;     Parent Loop BB16_78 Depth=2
                                        ; =>    This Inner Loop Header: Depth=3
	s_add_i32 s38, s38, 1
	s_cmpk_lg_i32 s38, 0x2710
	s_cselect_b64 s[34:35], -1, 0
	s_and_b64 vcc, exec, s[34:35]
	s_cbranch_vccz .LBB16_239
; %bb.238:                              ;   in Loop: Header=BB16_237 Depth=3
	s_mov_b64 vcc, -1
	s_or_b64 s[30:31], s[30:31], exec
	s_and_saveexec_b64 s[36:37], s[34:35]
	s_cbranch_execz .LBB16_236
	s_branch .LBB16_240
.LBB16_239:                             ;   in Loop: Header=BB16_237 Depth=3
	s_trap 2
	ds_read_b64 v[0:1], v0
	s_andn2_b64 s[34:35], s[34:35], exec
	s_mov_b32 s38, 0
	s_waitcnt lgkmcnt(0)
	flat_load_dword v0, v[0:1] glc
	s_waitcnt vmcnt(0) lgkmcnt(0)
	buffer_wbinvl1_vol
	v_cmp_eq_u32_e32 vcc, 0, v0
	s_and_b64 vcc, vcc, exec
	s_or_b64 s[34:35], s[34:35], vcc
	s_mov_b64 vcc, -1
	s_or_b64 s[30:31], s[30:31], exec
	s_and_saveexec_b64 s[36:37], s[34:35]
	s_cbranch_execz .LBB16_236
.LBB16_240:                             ;   in Loop: Header=BB16_237 Depth=3
	s_sleep 1
	s_trap 2
	ds_read_b64 v[0:1], v0
	s_waitcnt lgkmcnt(0)
	s_andn2_b64 s[30:31], s[30:31], exec
	v_cmp_ge_u64_e32 vcc, v[0:1], v[28:29]
	s_orn2_b64 vcc, vcc, exec
	s_branch .LBB16_236
.LBB16_241:                             ;   in Loop: Header=BB16_78 Depth=2
	s_or_b64 exec, exec, s[92:93]
	s_and_saveexec_b64 s[92:93], s[94:95]
	s_xor_b64 s[92:93], exec, s[92:93]
	s_cbranch_execz .LBB16_243
; %bb.242:                              ;   in Loop: Header=BB16_78 Depth=2
	ds_write_b32 v0, v13
	s_trap 2
.LBB16_243:                             ;   in Loop: Header=BB16_78 Depth=2
	s_or_b64 exec, exec, s[90:91]
	;;#ASMSTART
	s_wakeup
	;;#ASMEND
.LBB16_244:                             ;   in Loop: Header=BB16_78 Depth=2
	s_or_b64 exec, exec, s[42:43]
.LBB16_245:                             ;   in Loop: Header=BB16_78 Depth=2
	s_andn2_saveexec_b64 s[40:41], s[40:41]
	s_cbranch_execz .LBB16_247
; %bb.246:                              ;   in Loop: Header=BB16_78 Depth=2
	;;#ASMSTART
	s_waitcnt lgkmcnt(0) vmcnt(0)
	;;#ASMEND
	s_waitcnt vmcnt(0) lgkmcnt(0)
	s_barrier
.LBB16_247:                             ;   in Loop: Header=BB16_78 Depth=2
	s_or_b64 exec, exec, s[40:41]
	v_and_b32_e32 v0, 16, v56
	s_or_b64 exec, exec, s[28:29]
	v_cmp_ne_u32_e32 vcc, 0, v0
	s_and_saveexec_b64 s[28:29], vcc
	s_cbranch_execz .LBB16_77
.LBB16_248:                             ;   in Loop: Header=BB16_78 Depth=2
	s_and_saveexec_b64 s[40:41], s[22:23]
	s_cbranch_execz .LBB16_76
; %bb.249:                              ;   in Loop: Header=BB16_78 Depth=2
	s_waitcnt vmcnt(0)
	flat_store_dword v[30:31], v13
	s_branch .LBB16_76
.LBB16_250:                             ;   in Loop: Header=BB16_73 Depth=1
	s_or_b64 exec, exec, s[78:79]
.LBB16_251:                             ;   in Loop: Header=BB16_73 Depth=1
	s_or_b64 exec, exec, s[76:77]
	v_cmp_gt_i32_e32 vcc, 2, v0
	s_and_saveexec_b64 s[40:41], vcc
	s_cbranch_execz .LBB16_323
; %bb.252:                              ;   in Loop: Header=BB16_73 Depth=1
	v_cmp_eq_u32_e64 s[76:77], 0, v0
	s_mov_b64 s[42:43], 0
	s_branch .LBB16_255
.LBB16_253:                             ;   in Loop: Header=BB16_255 Depth=2
	s_or_b64 exec, exec, s[76:77]
	v_add_co_u32_e32 v48, vcc, 2, v48
	v_addc_co_u32_e32 v49, vcc, 0, v49, vcc
	flat_store_dwordx2 v[24:25], v[48:49]
.LBB16_254:                             ;   in Loop: Header=BB16_255 Depth=2
	s_or_b64 exec, exec, s[28:29]
	v_add_u32_e32 v57, v52, v57
	s_mov_b64 s[76:77], 0
	s_andn2_b64 exec, exec, s[42:43]
	s_cbranch_execz .LBB16_322
.LBB16_255:                             ;   Parent Loop BB16_73 Depth=1
                                        ; =>  This Loop Header: Depth=2
                                        ;       Child Loop BB16_261 Depth 3
                                        ;       Child Loop BB16_285 Depth 3
	;; [unrolled: 1-line block ×3, first 2 shown]
	v_sub_u32_e32 v0, v10, v57
	s_waitcnt vmcnt(0)
	v_min_i32_e32 v52, v52, v0
	v_and_b32_e32 v0, 8, v56
	v_cmp_ne_u32_e32 vcc, 0, v0
	s_and_saveexec_b64 s[78:79], vcc
	s_cbranch_execz .LBB16_277
; %bb.256:                              ;   in Loop: Header=BB16_255 Depth=2
	s_waitcnt lgkmcnt(0)
	v_add_co_u32_e32 v0, vcc, 8, v32
	v_addc_co_u32_e32 v1, vcc, 0, v33, vcc
	v_add_co_u32_e32 v2, vcc, 2, v48
	v_addc_co_u32_e32 v3, vcc, 0, v49, vcc
	v_cmp_lt_u64_e32 vcc, v[0:1], v[2:3]
	s_and_saveexec_b64 s[88:89], vcc
	s_cbranch_execz .LBB16_268
; %bb.257:                              ;   in Loop: Header=BB16_255 Depth=2
	v_and_b32_e32 v0, 64, v56
	s_mov_b32 s67, 0
	v_cmp_eq_u32_e32 vcc, 0, v0
	s_mov_b64 s[90:91], 0
                                        ; implicit-def: $sgpr92_sgpr93
                                        ; implicit-def: $sgpr94_sgpr95
                                        ; implicit-def: $sgpr30_sgpr31
	s_branch .LBB16_261
.LBB16_258:                             ;   in Loop: Header=BB16_261 Depth=3
	s_waitcnt vmcnt(0) lgkmcnt(0)
	v_add_co_u32_e64 v4, s[28:29], 8, v32
	v_addc_co_u32_e64 v5, s[28:29], 0, v33, s[28:29]
	v_cmp_ge_u64_e64 s[28:29], v[4:5], v[2:3]
	s_or_b64 s[38:39], s[38:39], exec
	s_orn2_b64 s[36:37], s[28:29], exec
.LBB16_259:                             ;   in Loop: Header=BB16_261 Depth=3
	s_or_b64 exec, exec, s[50:51]
	s_andn2_b64 s[28:29], s[30:31], exec
	s_and_b64 s[30:31], s[38:39], exec
	s_or_b64 s[30:31], s[28:29], s[30:31]
	s_andn2_b64 s[28:29], s[94:95], exec
	s_and_b64 s[94:95], s[36:37], exec
	s_or_b64 s[94:95], s[28:29], s[94:95]
.LBB16_260:                             ;   in Loop: Header=BB16_261 Depth=3
	s_or_b64 exec, exec, s[34:35]
	s_and_b64 s[28:29], exec, s[94:95]
	s_or_b64 s[90:91], s[28:29], s[90:91]
	s_andn2_b64 s[28:29], s[92:93], exec
	s_and_b64 s[92:93], s[30:31], exec
	s_or_b64 s[92:93], s[28:29], s[92:93]
	s_andn2_b64 exec, exec, s[90:91]
	s_cbranch_execz .LBB16_265
.LBB16_261:                             ;   Parent Loop BB16_73 Depth=1
                                        ;     Parent Loop BB16_255 Depth=2
                                        ; =>    This Inner Loop Header: Depth=3
	s_sleep 1
	s_waitcnt vmcnt(0) lgkmcnt(0)
	flat_load_dwordx2 v[32:33], v[24:25] glc
	s_or_b64 s[30:31], s[30:31], exec
	s_or_b64 s[94:95], s[94:95], exec
                                        ; implicit-def: $vgpr0
	s_and_saveexec_b64 s[34:35], vcc
	s_cbranch_execz .LBB16_260
; %bb.262:                              ;   in Loop: Header=BB16_261 Depth=3
	s_cmpk_lt_i32 s67, 0x270f
	s_cselect_b64 s[48:49], -1, 0
	s_cmpk_gt_i32 s67, 0x270e
	s_mov_b64 s[36:37], -1
	s_cbranch_scc0 .LBB16_264
; %bb.263:                              ;   in Loop: Header=BB16_261 Depth=3
	s_trap 2
	ds_read_b64 v[0:1], v0
	s_andn2_b64 s[48:49], s[48:49], exec
	s_mov_b32 s67, 0
	s_mov_b64 s[38:39], 0
	s_waitcnt vmcnt(0) lgkmcnt(0)
	flat_load_dword v0, v[0:1] glc
	s_waitcnt vmcnt(0) lgkmcnt(0)
	buffer_wbinvl1_vol
	v_cmp_eq_u32_e64 s[28:29], 0, v0
	s_and_b64 s[28:29], s[28:29], exec
	s_or_b64 s[48:49], s[48:49], s[28:29]
	s_and_saveexec_b64 s[50:51], s[48:49]
	s_cbranch_execz .LBB16_259
	s_branch .LBB16_258
.LBB16_264:                             ;   in Loop: Header=BB16_261 Depth=3
	s_add_i32 s67, s67, 1
	s_mov_b64 s[38:39], -1
                                        ; implicit-def: $vgpr0
	s_and_saveexec_b64 s[50:51], s[48:49]
	s_cbranch_execz .LBB16_259
	s_branch .LBB16_258
.LBB16_265:                             ;   in Loop: Header=BB16_255 Depth=2
	s_or_b64 exec, exec, s[90:91]
	s_xor_b64 s[28:29], s[92:93], -1
	s_and_saveexec_b64 s[90:91], s[28:29]
	s_xor_b64 s[28:29], exec, s[90:91]
	s_cbranch_execz .LBB16_267
; %bb.266:                              ;   in Loop: Header=BB16_255 Depth=2
	v_or_b32_e32 v56, 64, v56
	s_waitcnt lgkmcnt(0)
	ds_write_b32 v0, v0
	s_trap 2
.LBB16_267:                             ;   in Loop: Header=BB16_255 Depth=2
	s_or_b64 exec, exec, s[28:29]
.LBB16_268:                             ;   in Loop: Header=BB16_255 Depth=2
	s_or_b64 exec, exec, s[88:89]
	v_and_b32_e32 v0, 0x100, v56
	v_cmp_ne_u32_e32 vcc, 0, v0
	v_and_b32_e32 v0, 7, v48
	s_mov_b64 s[28:29], -1
	;;#ASMSTART
	s_wakeup
	;;#ASMEND
                                        ; implicit-def: $vgpr4_vgpr5
	s_and_saveexec_b64 s[88:89], vcc
	s_cbranch_execz .LBB16_272
; %bb.269:                              ;   in Loop: Header=BB16_255 Depth=2
	v_mad_u64_u32 v[48:49], s[28:29], v0, 24, v[26:27]
	v_ashrrev_i32_e32 v53, 31, v52
                                        ; implicit-def: $vgpr4_vgpr5
	flat_load_dword v1, v[48:49]
	s_nop 0
	flat_store_dwordx2 v[48:49], v[52:53] offset:8
	s_waitcnt vmcnt(0) lgkmcnt(0)
	v_cmp_ne_u32_e32 vcc, 1, v1
	v_cmp_eq_u32_e64 s[28:29], 1, v1
	s_and_saveexec_b64 s[90:91], s[28:29]
	s_cbranch_execz .LBB16_271
; %bb.270:                              ;   in Loop: Header=BB16_255 Depth=2
	flat_load_dword v4, v[48:49] offset:4 glc
	s_waitcnt vmcnt(0) lgkmcnt(0)
	v_ashrrev_i32_e32 v5, 31, v4
.LBB16_271:                             ;   in Loop: Header=BB16_255 Depth=2
	s_or_b64 exec, exec, s[90:91]
	s_orn2_b64 s[28:29], vcc, exec
.LBB16_272:                             ;   in Loop: Header=BB16_255 Depth=2
	s_or_b64 exec, exec, s[88:89]
	s_and_saveexec_b64 s[88:89], s[28:29]
	s_cbranch_execz .LBB16_274
; %bb.273:                              ;   in Loop: Header=BB16_255 Depth=2
	buffer_load_dword v1, off, s[0:3], s33 offset:68 ; 4-byte Folded Reload
	s_waitcnt vmcnt(0)
	v_mad_i64_i32 v[4:5], s[28:29], v0, v1, 0
.LBB16_274:                             ;   in Loop: Header=BB16_255 Depth=2
	s_or_b64 exec, exec, s[88:89]
	v_add_co_u32_e32 v0, vcc, v60, v4
	v_addc_co_u32_e32 v1, vcc, v61, v5, vcc
	ds_write_b64 v0, v[0:1] offset:792
	v_and_b32_e32 v0, 0x2000, v56
	v_cmp_ne_u32_e32 vcc, 0, v0
	s_and_saveexec_b64 s[28:29], vcc
	s_cbranch_execz .LBB16_276
; %bb.275:                              ;   in Loop: Header=BB16_255 Depth=2
	ds_read_b64 v[0:1], v0 offset:872
	s_waitcnt lgkmcnt(0)
	v_add_co_u32_e32 v0, vcc, 1, v0
	v_addc_co_u32_e32 v1, vcc, 0, v1, vcc
	ds_write_b64 v0, v[0:1] offset:872
.LBB16_276:                             ;   in Loop: Header=BB16_255 Depth=2
	s_or_b64 exec, exec, s[28:29]
	v_mov_b32_e32 v49, v3
	v_mov_b32_e32 v48, v2
.LBB16_277:                             ;   in Loop: Header=BB16_255 Depth=2
	s_or_b64 exec, exec, s[78:79]
	s_xor_b64 s[28:29], s[76:77], -1
	s_and_b64 s[28:29], exec, s[28:29]
	s_or_b64 s[42:43], s[28:29], s[42:43]
	s_and_saveexec_b64 s[28:29], s[12:13]
	s_cbranch_execz .LBB16_296
; %bb.278:                              ;   in Loop: Header=BB16_255 Depth=2
	s_and_saveexec_b64 s[76:77], s[58:59]
	s_xor_b64 s[76:77], exec, s[76:77]
	s_cbranch_execz .LBB16_293
; %bb.279:                              ;   in Loop: Header=BB16_255 Depth=2
	s_and_saveexec_b64 s[78:79], s[6:7]
	s_cbranch_execz .LBB16_292
; %bb.280:                              ;   in Loop: Header=BB16_255 Depth=2
	s_mov_b64 s[90:91], exec
	v_mbcnt_lo_u32_b32 v0, s90, 0
	v_mbcnt_hi_u32_b32 v0, s91, v0
	v_cmp_eq_u32_e32 vcc, 0, v0
	s_waitcnt vmcnt(0) lgkmcnt(0)
	buffer_wbinvl1_vol
	s_and_saveexec_b64 s[88:89], vcc
	s_cbranch_execz .LBB16_282
; %bb.281:                              ;   in Loop: Header=BB16_255 Depth=2
	s_bcnt1_i32_b64 s90, s[90:91]
	v_mov_b32_e32 v17, s90
	ds_add_u64 v0, v[17:18]
	s_trap 2
.LBB16_282:                             ;   in Loop: Header=BB16_255 Depth=2
	s_or_b64 exec, exec, s[88:89]
	s_trap 2
	ds_read_b64 v[0:1], v0
	s_waitcnt lgkmcnt(0)
	v_add_co_u32_e32 v28, vcc, v28, v62
	v_addc_co_u32_e32 v29, vcc, 0, v29, vcc
	v_cmp_lt_u64_e32 vcc, v[0:1], v[28:29]
	s_and_saveexec_b64 s[88:89], vcc
	s_cbranch_execz .LBB16_291
; %bb.283:                              ;   in Loop: Header=BB16_255 Depth=2
	s_mov_b32 s36, 0
	s_mov_b64 s[90:91], 0
                                        ; implicit-def: $sgpr92_sgpr93
                                        ; implicit-def: $sgpr94_sgpr95
	s_branch .LBB16_285
.LBB16_284:                             ;   in Loop: Header=BB16_285 Depth=3
	s_or_b64 exec, exec, s[34:35]
	s_and_b64 vcc, exec, vcc
	s_or_b64 s[90:91], vcc, s[90:91]
	s_andn2_b64 s[92:93], s[92:93], exec
	s_and_b64 vcc, s[94:95], exec
	s_or_b64 s[92:93], s[92:93], vcc
	s_andn2_b64 exec, exec, s[90:91]
	s_cbranch_execz .LBB16_289
.LBB16_285:                             ;   Parent Loop BB16_73 Depth=1
                                        ;     Parent Loop BB16_255 Depth=2
                                        ; =>    This Inner Loop Header: Depth=3
	s_add_i32 s36, s36, 1
	s_cmpk_lg_i32 s36, 0x2710
	s_cselect_b64 s[30:31], -1, 0
	s_and_b64 vcc, exec, s[30:31]
	s_cbranch_vccz .LBB16_287
; %bb.286:                              ;   in Loop: Header=BB16_285 Depth=3
	s_mov_b64 vcc, -1
	s_or_b64 s[94:95], s[94:95], exec
	s_and_saveexec_b64 s[34:35], s[30:31]
	s_cbranch_execz .LBB16_284
	s_branch .LBB16_288
.LBB16_287:                             ;   in Loop: Header=BB16_285 Depth=3
	s_trap 2
	ds_read_b64 v[0:1], v0
	s_andn2_b64 s[30:31], s[30:31], exec
	s_mov_b32 s36, 0
	s_waitcnt lgkmcnt(0)
	flat_load_dword v0, v[0:1] glc
	s_waitcnt vmcnt(0) lgkmcnt(0)
	buffer_wbinvl1_vol
	v_cmp_eq_u32_e32 vcc, 0, v0
	s_and_b64 vcc, vcc, exec
	s_or_b64 s[30:31], s[30:31], vcc
	s_mov_b64 vcc, -1
	s_or_b64 s[94:95], s[94:95], exec
	s_and_saveexec_b64 s[34:35], s[30:31]
	s_cbranch_execz .LBB16_284
.LBB16_288:                             ;   in Loop: Header=BB16_285 Depth=3
	s_sleep 1
	s_trap 2
	ds_read_b64 v[0:1], v0
	s_waitcnt lgkmcnt(0)
	s_andn2_b64 s[94:95], s[94:95], exec
	v_cmp_ge_u64_e32 vcc, v[0:1], v[28:29]
	s_orn2_b64 vcc, vcc, exec
	s_branch .LBB16_284
.LBB16_289:                             ;   in Loop: Header=BB16_255 Depth=2
	s_or_b64 exec, exec, s[90:91]
	s_and_saveexec_b64 s[90:91], s[92:93]
	s_xor_b64 s[90:91], exec, s[90:91]
	s_cbranch_execz .LBB16_291
; %bb.290:                              ;   in Loop: Header=BB16_255 Depth=2
	ds_write_b32 v0, v13
	s_trap 2
.LBB16_291:                             ;   in Loop: Header=BB16_255 Depth=2
	s_or_b64 exec, exec, s[88:89]
	;;#ASMSTART
	s_wakeup
	;;#ASMEND
.LBB16_292:                             ;   in Loop: Header=BB16_255 Depth=2
	s_or_b64 exec, exec, s[78:79]
.LBB16_293:                             ;   in Loop: Header=BB16_255 Depth=2
	s_andn2_saveexec_b64 s[76:77], s[76:77]
	s_cbranch_execz .LBB16_295
; %bb.294:                              ;   in Loop: Header=BB16_255 Depth=2
	s_waitcnt vmcnt(0) lgkmcnt(0)
	buffer_wbinvl1_vol
	s_barrier
.LBB16_295:                             ;   in Loop: Header=BB16_255 Depth=2
	s_or_b64 exec, exec, s[76:77]
.LBB16_296:                             ;   in Loop: Header=BB16_255 Depth=2
	s_or_b64 exec, exec, s[28:29]
                                        ; implicit-def: $vgpr0
	s_and_saveexec_b64 s[28:29], s[18:19]
	s_xor_b64 s[28:29], exec, s[28:29]
	s_cbranch_execz .LBB16_301
; %bb.297:                              ;   in Loop: Header=BB16_255 Depth=2
	s_trap 2
	ds_read_b32 v0, v0
	v_cmp_lt_i32_e32 vcc, 0, v52
	v_and_b32_e32 v1, 16, v56
	s_waitcnt lgkmcnt(0)
	v_readfirstlane_b32 s76, v0
	s_cmp_eq_u32 s76, 0
	s_cselect_b64 s[76:77], -1, 0
	s_and_b64 s[76:77], vcc, s[76:77]
	v_cmp_ne_u32_e32 vcc, 0, v1
	v_and_b32_e32 v0, 16, v56
	s_and_b64 s[78:79], vcc, s[76:77]
	s_and_saveexec_b64 s[76:77], s[78:79]
	s_cbranch_execz .LBB16_299
; %bb.298:                              ;   in Loop: Header=BB16_255 Depth=2
	v_mov_b32_e32 v0, 1
	s_waitcnt vmcnt(0)
	buffer_wbinvl1_vol
.LBB16_299:                             ;   in Loop: Header=BB16_255 Depth=2
	s_or_b64 exec, exec, s[76:77]
	s_andn2_saveexec_b64 s[28:29], s[28:29]
	s_cbranch_execnz .LBB16_302
.LBB16_300:                             ;   in Loop: Header=BB16_255 Depth=2
	s_or_b64 exec, exec, s[28:29]
	v_cmp_ne_u32_e32 vcc, 0, v0
	s_and_saveexec_b64 s[28:29], vcc
	s_cbranch_execz .LBB16_254
	s_branch .LBB16_320
.LBB16_301:                             ;   in Loop: Header=BB16_255 Depth=2
	s_andn2_saveexec_b64 s[28:29], s[28:29]
	s_cbranch_execz .LBB16_300
.LBB16_302:                             ;   in Loop: Header=BB16_255 Depth=2
	s_and_saveexec_b64 s[76:77], s[58:59]
	s_xor_b64 s[76:77], exec, s[76:77]
	s_cbranch_execz .LBB16_317
; %bb.303:                              ;   in Loop: Header=BB16_255 Depth=2
	s_and_saveexec_b64 s[78:79], s[6:7]
	s_cbranch_execz .LBB16_316
; %bb.304:                              ;   in Loop: Header=BB16_255 Depth=2
	s_mov_b64 s[90:91], exec
	v_mbcnt_lo_u32_b32 v0, s90, 0
	v_mbcnt_hi_u32_b32 v0, s91, v0
	v_cmp_eq_u32_e32 vcc, 0, v0
	;;#ASMSTART
	s_waitcnt lgkmcnt(0) vmcnt(0)
	;;#ASMEND
	s_and_saveexec_b64 s[88:89], vcc
	s_cbranch_execz .LBB16_306
; %bb.305:                              ;   in Loop: Header=BB16_255 Depth=2
	s_bcnt1_i32_b64 s90, s[90:91]
	v_mov_b32_e32 v17, s90
	s_waitcnt lgkmcnt(0)
	ds_add_u64 v0, v[17:18]
	s_trap 2
.LBB16_306:                             ;   in Loop: Header=BB16_255 Depth=2
	s_or_b64 exec, exec, s[88:89]
	s_trap 2
	ds_read_b64 v[0:1], v0
	s_waitcnt lgkmcnt(0)
	v_add_co_u32_e32 v28, vcc, v28, v62
	v_addc_co_u32_e32 v29, vcc, 0, v29, vcc
	v_cmp_lt_u64_e32 vcc, v[0:1], v[28:29]
	s_and_saveexec_b64 s[88:89], vcc
	s_cbranch_execz .LBB16_315
; %bb.307:                              ;   in Loop: Header=BB16_255 Depth=2
	s_mov_b32 s36, 0
	s_mov_b64 s[90:91], 0
                                        ; implicit-def: $sgpr92_sgpr93
                                        ; implicit-def: $sgpr94_sgpr95
	s_branch .LBB16_309
.LBB16_308:                             ;   in Loop: Header=BB16_309 Depth=3
	s_or_b64 exec, exec, s[34:35]
	s_and_b64 vcc, exec, vcc
	s_or_b64 s[90:91], vcc, s[90:91]
	s_andn2_b64 s[92:93], s[92:93], exec
	s_and_b64 vcc, s[94:95], exec
	s_or_b64 s[92:93], s[92:93], vcc
	s_andn2_b64 exec, exec, s[90:91]
	s_cbranch_execz .LBB16_313
.LBB16_309:                             ;   Parent Loop BB16_73 Depth=1
                                        ;     Parent Loop BB16_255 Depth=2
                                        ; =>    This Inner Loop Header: Depth=3
	s_add_i32 s36, s36, 1
	s_cmpk_lg_i32 s36, 0x2710
	s_cselect_b64 s[30:31], -1, 0
	s_and_b64 vcc, exec, s[30:31]
	s_cbranch_vccz .LBB16_311
; %bb.310:                              ;   in Loop: Header=BB16_309 Depth=3
	s_mov_b64 vcc, -1
	s_or_b64 s[94:95], s[94:95], exec
	s_and_saveexec_b64 s[34:35], s[30:31]
	s_cbranch_execz .LBB16_308
	s_branch .LBB16_312
.LBB16_311:                             ;   in Loop: Header=BB16_309 Depth=3
	s_trap 2
	ds_read_b64 v[0:1], v0
	s_andn2_b64 s[30:31], s[30:31], exec
	s_mov_b32 s36, 0
	s_waitcnt vmcnt(0) lgkmcnt(0)
	flat_load_dword v0, v[0:1] glc
	s_waitcnt vmcnt(0) lgkmcnt(0)
	buffer_wbinvl1_vol
	v_cmp_eq_u32_e32 vcc, 0, v0
	s_and_b64 vcc, vcc, exec
	s_or_b64 s[30:31], s[30:31], vcc
	s_mov_b64 vcc, -1
	s_or_b64 s[94:95], s[94:95], exec
	s_and_saveexec_b64 s[34:35], s[30:31]
	s_cbranch_execz .LBB16_308
.LBB16_312:                             ;   in Loop: Header=BB16_309 Depth=3
	s_sleep 1
	s_trap 2
	ds_read_b64 v[0:1], v0
	s_waitcnt lgkmcnt(0)
	s_andn2_b64 s[94:95], s[94:95], exec
	v_cmp_ge_u64_e32 vcc, v[0:1], v[28:29]
	s_orn2_b64 vcc, vcc, exec
	s_branch .LBB16_308
.LBB16_313:                             ;   in Loop: Header=BB16_255 Depth=2
	s_or_b64 exec, exec, s[90:91]
	s_and_saveexec_b64 s[90:91], s[92:93]
	s_xor_b64 s[90:91], exec, s[90:91]
	s_cbranch_execz .LBB16_315
; %bb.314:                              ;   in Loop: Header=BB16_255 Depth=2
	ds_write_b32 v0, v13
	s_trap 2
.LBB16_315:                             ;   in Loop: Header=BB16_255 Depth=2
	s_or_b64 exec, exec, s[88:89]
	;;#ASMSTART
	s_wakeup
	;;#ASMEND
.LBB16_316:                             ;   in Loop: Header=BB16_255 Depth=2
	s_or_b64 exec, exec, s[78:79]
.LBB16_317:                             ;   in Loop: Header=BB16_255 Depth=2
	s_andn2_saveexec_b64 s[76:77], s[76:77]
	s_cbranch_execz .LBB16_319
; %bb.318:                              ;   in Loop: Header=BB16_255 Depth=2
	;;#ASMSTART
	s_waitcnt lgkmcnt(0) vmcnt(0)
	;;#ASMEND
	s_waitcnt vmcnt(0) lgkmcnt(0)
	s_barrier
.LBB16_319:                             ;   in Loop: Header=BB16_255 Depth=2
	s_or_b64 exec, exec, s[76:77]
	v_and_b32_e32 v0, 16, v56
	s_or_b64 exec, exec, s[28:29]
	v_cmp_ne_u32_e32 vcc, 0, v0
	s_and_saveexec_b64 s[28:29], vcc
	s_cbranch_execz .LBB16_254
.LBB16_320:                             ;   in Loop: Header=BB16_255 Depth=2
	s_and_saveexec_b64 s[76:77], s[22:23]
	s_cbranch_execz .LBB16_253
; %bb.321:                              ;   in Loop: Header=BB16_255 Depth=2
	flat_store_dword v[30:31], v13
	s_branch .LBB16_253
.LBB16_322:                             ;   in Loop: Header=BB16_73 Depth=1
	s_or_b64 exec, exec, s[42:43]
.LBB16_323:                             ;   in Loop: Header=BB16_73 Depth=1
	s_or_b64 exec, exec, s[40:41]
	buffer_load_dword v21, off, s[0:3], s33 offset:172 ; 4-byte Folded Reload
	buffer_load_dword v34, off, s[0:3], s33 offset:176 ; 4-byte Folded Reload
	s_waitcnt vmcnt(0)
	v_lshlrev_b32_e32 v52, 13, v62
.LBB16_324:                             ;   in Loop: Header=BB16_73 Depth=1
	s_or_saveexec_b64 s[40:41], s[74:75]
	buffer_load_dword v23, off, s[0:3], s33 offset:144 ; 4-byte Folded Reload
	buffer_load_dword v54, off, s[0:3], s33 offset:188 ; 4-byte Folded Reload
	s_xor_b64 exec, exec, s[40:41]
	s_cbranch_execz .LBB16_468
; %bb.325:                              ;   in Loop: Header=BB16_73 Depth=1
	v_mov_b32_e32 v0, 0
	s_waitcnt vmcnt(0)
	v_mov_b32_e32 v2, v54
	v_mov_b32_e32 v42, 0
	s_and_saveexec_b64 s[42:43], s[26:27]
	s_cbranch_execz .LBB16_731
; %bb.326:                              ;   in Loop: Header=BB16_73 Depth=1
	s_mov_b32 s67, 1
	s_mov_b64 s[76:77], -1
	v_mov_b32_e32 v42, 0
	s_mov_b64 s[74:75], 0
	v_mov_b32_e32 v2, v54
	s_branch .LBB16_329
.LBB16_327:                             ;   in Loop: Header=BB16_329 Depth=2
	s_or_b64 exec, exec, s[78:79]
	s_waitcnt vmcnt(0)
	v_add_co_u32_e32 v48, vcc, 2, v48
	v_addc_co_u32_e32 v49, vcc, 0, v49, vcc
	flat_store_dwordx2 v[24:25], v[48:49]
.LBB16_328:                             ;   in Loop: Header=BB16_329 Depth=2
	s_or_b64 exec, exec, s[28:29]
	v_add_u32_e32 v42, v2, v42
	s_waitcnt vmcnt(0)
	v_cmp_ge_i32_e32 vcc, v42, v10
	s_xor_b64 s[28:29], s[76:77], -1
	s_or_b64 s[28:29], s[28:29], vcc
	s_and_b64 s[28:29], exec, s[28:29]
	s_or_b64 s[74:75], s[28:29], s[74:75]
	s_mov_b64 s[76:77], 0
	v_mov_b32_e32 v0, s67
	s_mov_b32 s67, 2
	s_andn2_b64 exec, exec, s[74:75]
	s_cbranch_execz .LBB16_730
.LBB16_329:                             ;   Parent Loop BB16_73 Depth=1
                                        ; =>  This Loop Header: Depth=2
                                        ;       Child Loop BB16_337 Depth 3
                                        ;       Child Loop BB16_361 Depth 3
	;; [unrolled: 1-line block ×9, first 2 shown]
	s_and_saveexec_b64 s[28:29], s[4:5]
	s_cbranch_execz .LBB16_331
; %bb.330:                              ;   in Loop: Header=BB16_329 Depth=2
	s_trap 2
	ds_read_b64 v[0:1], v0
	buffer_load_dword v3, off, s[0:3], s33 offset:180 ; 4-byte Folded Reload
	buffer_load_dword v4, off, s[0:3], s33 offset:184 ; 4-byte Folded Reload
	v_mov_b32_e32 v17, v18
	s_waitcnt vmcnt(0) lgkmcnt(0)
	v_add_co_u32_e32 v0, vcc, v0, v3
	v_addc_co_u32_e32 v1, vcc, v1, v4, vcc
	v_ashrrev_i32_e32 v3, 31, v42
	v_add_co_u32_e32 v0, vcc, v0, v42
	v_addc_co_u32_e32 v1, vcc, v1, v3, vcc
	ds_write_b64 v0, v[0:1]
	ds_write_b64 v0, v[17:18]
.LBB16_331:                             ;   in Loop: Header=BB16_329 Depth=2
	s_or_b64 exec, exec, s[28:29]
	v_sub_u32_e32 v0, v10, v42
	v_min_i32_e32 v2, v2, v0
	v_and_b32_e32 v0, 8, v56
	v_cmp_ne_u32_e32 vcc, 0, v0
	s_and_saveexec_b64 s[78:79], vcc
	s_cbranch_execz .LBB16_353
; %bb.332:                              ;   in Loop: Header=BB16_329 Depth=2
	s_waitcnt lgkmcnt(0)
	v_add_co_u32_e32 v0, vcc, 8, v32
	v_addc_co_u32_e32 v1, vcc, 0, v33, vcc
	v_add_co_u32_e32 v4, vcc, 2, v48
	v_addc_co_u32_e32 v5, vcc, 0, v49, vcc
	v_cmp_lt_u64_e32 vcc, v[0:1], v[4:5]
	s_and_saveexec_b64 s[88:89], vcc
	s_cbranch_execz .LBB16_344
; %bb.333:                              ;   in Loop: Header=BB16_329 Depth=2
	v_and_b32_e32 v0, 64, v56
	s_mov_b32 s68, 0
	v_cmp_eq_u32_e32 vcc, 0, v0
	s_mov_b64 s[90:91], 0
                                        ; implicit-def: $sgpr92_sgpr93
                                        ; implicit-def: $sgpr94_sgpr95
                                        ; implicit-def: $sgpr30_sgpr31
	s_branch .LBB16_337
.LBB16_334:                             ;   in Loop: Header=BB16_337 Depth=3
	s_waitcnt vmcnt(0) lgkmcnt(0)
	v_add_co_u32_e64 v6, s[28:29], 8, v32
	v_addc_co_u32_e64 v7, s[28:29], 0, v33, s[28:29]
	v_cmp_ge_u64_e64 s[28:29], v[6:7], v[4:5]
	s_or_b64 s[38:39], s[38:39], exec
	s_orn2_b64 s[36:37], s[28:29], exec
.LBB16_335:                             ;   in Loop: Header=BB16_337 Depth=3
	s_or_b64 exec, exec, s[50:51]
	s_andn2_b64 s[28:29], s[30:31], exec
	s_and_b64 s[30:31], s[38:39], exec
	s_or_b64 s[30:31], s[28:29], s[30:31]
	s_andn2_b64 s[28:29], s[94:95], exec
	s_and_b64 s[94:95], s[36:37], exec
	s_or_b64 s[94:95], s[28:29], s[94:95]
.LBB16_336:                             ;   in Loop: Header=BB16_337 Depth=3
	s_or_b64 exec, exec, s[34:35]
	s_and_b64 s[28:29], exec, s[94:95]
	s_or_b64 s[90:91], s[28:29], s[90:91]
	s_andn2_b64 s[28:29], s[92:93], exec
	s_and_b64 s[92:93], s[30:31], exec
	s_or_b64 s[92:93], s[28:29], s[92:93]
	s_andn2_b64 exec, exec, s[90:91]
	s_cbranch_execz .LBB16_341
.LBB16_337:                             ;   Parent Loop BB16_73 Depth=1
                                        ;     Parent Loop BB16_329 Depth=2
                                        ; =>    This Inner Loop Header: Depth=3
	s_sleep 1
	s_waitcnt vmcnt(0) lgkmcnt(0)
	flat_load_dwordx2 v[32:33], v[24:25] glc
	s_or_b64 s[30:31], s[30:31], exec
	s_or_b64 s[94:95], s[94:95], exec
                                        ; implicit-def: $vgpr0
	s_and_saveexec_b64 s[34:35], vcc
	s_cbranch_execz .LBB16_336
; %bb.338:                              ;   in Loop: Header=BB16_337 Depth=3
	s_cmpk_lt_i32 s68, 0x270f
	s_cselect_b64 s[48:49], -1, 0
	s_cmpk_gt_i32 s68, 0x270e
	s_mov_b64 s[36:37], -1
	s_cbranch_scc0 .LBB16_340
; %bb.339:                              ;   in Loop: Header=BB16_337 Depth=3
	s_trap 2
	ds_read_b64 v[0:1], v0
	s_andn2_b64 s[48:49], s[48:49], exec
	s_mov_b32 s68, 0
	s_mov_b64 s[38:39], 0
	s_waitcnt vmcnt(0) lgkmcnt(0)
	flat_load_dword v0, v[0:1] glc
	s_waitcnt vmcnt(0) lgkmcnt(0)
	buffer_wbinvl1_vol
	v_cmp_eq_u32_e64 s[28:29], 0, v0
	s_and_b64 s[28:29], s[28:29], exec
	s_or_b64 s[48:49], s[48:49], s[28:29]
	s_and_saveexec_b64 s[50:51], s[48:49]
	s_cbranch_execz .LBB16_335
	s_branch .LBB16_334
.LBB16_340:                             ;   in Loop: Header=BB16_337 Depth=3
	s_add_i32 s68, s68, 1
	s_mov_b64 s[38:39], -1
                                        ; implicit-def: $vgpr0
	s_and_saveexec_b64 s[50:51], s[48:49]
	s_cbranch_execz .LBB16_335
	s_branch .LBB16_334
.LBB16_341:                             ;   in Loop: Header=BB16_329 Depth=2
	s_or_b64 exec, exec, s[90:91]
	s_xor_b64 s[28:29], s[92:93], -1
	s_and_saveexec_b64 s[90:91], s[28:29]
	s_xor_b64 s[28:29], exec, s[90:91]
	s_cbranch_execz .LBB16_343
; %bb.342:                              ;   in Loop: Header=BB16_329 Depth=2
	v_or_b32_e32 v56, 64, v56
	s_waitcnt lgkmcnt(0)
	ds_write_b32 v0, v0
	s_trap 2
.LBB16_343:                             ;   in Loop: Header=BB16_329 Depth=2
	s_or_b64 exec, exec, s[28:29]
.LBB16_344:                             ;   in Loop: Header=BB16_329 Depth=2
	s_or_b64 exec, exec, s[88:89]
	v_and_b32_e32 v0, 0x100, v56
	v_cmp_ne_u32_e32 vcc, 0, v0
	v_and_b32_e32 v0, 7, v48
	s_mov_b64 s[28:29], -1
	;;#ASMSTART
	s_wakeup
	;;#ASMEND
                                        ; implicit-def: $vgpr48_vgpr49
	s_and_saveexec_b64 s[88:89], vcc
	s_cbranch_execz .LBB16_348
; %bb.345:                              ;   in Loop: Header=BB16_329 Depth=2
	v_mad_u64_u32 v[52:53], s[28:29], v0, 24, v[26:27]
	v_ashrrev_i32_e32 v3, 31, v2
                                        ; implicit-def: $vgpr48_vgpr49
	flat_load_dword v1, v[52:53]
	s_nop 0
	flat_store_dwordx2 v[52:53], v[2:3] offset:8
	s_waitcnt vmcnt(0) lgkmcnt(0)
	v_cmp_ne_u32_e32 vcc, 1, v1
	v_cmp_eq_u32_e64 s[28:29], 1, v1
	s_and_saveexec_b64 s[90:91], s[28:29]
	s_cbranch_execz .LBB16_347
; %bb.346:                              ;   in Loop: Header=BB16_329 Depth=2
	flat_load_dword v48, v[52:53] offset:4 glc
	s_waitcnt vmcnt(0) lgkmcnt(0)
	v_ashrrev_i32_e32 v49, 31, v48
.LBB16_347:                             ;   in Loop: Header=BB16_329 Depth=2
	s_or_b64 exec, exec, s[90:91]
	buffer_load_dword v21, off, s[0:3], s33 offset:172 ; 4-byte Folded Reload
	buffer_load_dword v34, off, s[0:3], s33 offset:176 ; 4-byte Folded Reload
	s_orn2_b64 s[28:29], vcc, exec
	v_lshlrev_b32_e32 v52, 13, v62
.LBB16_348:                             ;   in Loop: Header=BB16_329 Depth=2
	s_or_b64 exec, exec, s[88:89]
	s_and_saveexec_b64 s[88:89], s[28:29]
	s_cbranch_execz .LBB16_350
; %bb.349:                              ;   in Loop: Header=BB16_329 Depth=2
	buffer_load_dword v1, off, s[0:3], s33 offset:68 ; 4-byte Folded Reload
	s_waitcnt vmcnt(0)
	v_mad_i64_i32 v[48:49], s[28:29], v0, v1, 0
.LBB16_350:                             ;   in Loop: Header=BB16_329 Depth=2
	s_or_b64 exec, exec, s[88:89]
	v_add_co_u32_e32 v0, vcc, v60, v48
	v_addc_co_u32_e32 v1, vcc, v61, v49, vcc
	ds_write_b64 v0, v[0:1] offset:784
	v_and_b32_e32 v0, 0x2000, v56
	v_cmp_ne_u32_e32 vcc, 0, v0
	s_and_saveexec_b64 s[28:29], vcc
	s_cbranch_execz .LBB16_352
; %bb.351:                              ;   in Loop: Header=BB16_329 Depth=2
	ds_read_b64 v[0:1], v0 offset:872
	s_waitcnt lgkmcnt(0)
	v_add_co_u32_e32 v0, vcc, 1, v0
	v_addc_co_u32_e32 v1, vcc, 0, v1, vcc
	ds_write_b64 v0, v[0:1] offset:872
.LBB16_352:                             ;   in Loop: Header=BB16_329 Depth=2
	s_or_b64 exec, exec, s[28:29]
	v_mov_b32_e32 v49, v5
	v_mov_b32_e32 v48, v4
.LBB16_353:                             ;   in Loop: Header=BB16_329 Depth=2
	s_or_b64 exec, exec, s[78:79]
	s_and_saveexec_b64 s[28:29], s[12:13]
	s_cbranch_execz .LBB16_372
; %bb.354:                              ;   in Loop: Header=BB16_329 Depth=2
	s_and_saveexec_b64 s[78:79], s[58:59]
	s_xor_b64 s[78:79], exec, s[78:79]
	s_cbranch_execz .LBB16_369
; %bb.355:                              ;   in Loop: Header=BB16_329 Depth=2
	s_and_saveexec_b64 s[88:89], s[6:7]
	s_cbranch_execz .LBB16_368
; %bb.356:                              ;   in Loop: Header=BB16_329 Depth=2
	s_mov_b64 s[92:93], exec
	v_mbcnt_lo_u32_b32 v0, s92, 0
	v_mbcnt_hi_u32_b32 v0, s93, v0
	v_cmp_eq_u32_e32 vcc, 0, v0
	s_waitcnt vmcnt(0) lgkmcnt(0)
	buffer_wbinvl1_vol
	s_and_saveexec_b64 s[90:91], vcc
	s_cbranch_execz .LBB16_358
; %bb.357:                              ;   in Loop: Header=BB16_329 Depth=2
	s_bcnt1_i32_b64 s92, s[92:93]
	v_mov_b32_e32 v17, s92
	ds_add_u64 v0, v[17:18]
	s_trap 2
.LBB16_358:                             ;   in Loop: Header=BB16_329 Depth=2
	s_or_b64 exec, exec, s[90:91]
	s_trap 2
	ds_read_b64 v[0:1], v0
	s_waitcnt lgkmcnt(0)
	v_add_co_u32_e32 v28, vcc, v28, v62
	v_addc_co_u32_e32 v29, vcc, 0, v29, vcc
	v_cmp_lt_u64_e32 vcc, v[0:1], v[28:29]
	s_and_saveexec_b64 s[90:91], vcc
	s_cbranch_execz .LBB16_367
; %bb.359:                              ;   in Loop: Header=BB16_329 Depth=2
	s_mov_b32 s38, 0
	s_mov_b64 s[92:93], 0
                                        ; implicit-def: $sgpr94_sgpr95
                                        ; implicit-def: $sgpr30_sgpr31
	s_branch .LBB16_361
.LBB16_360:                             ;   in Loop: Header=BB16_361 Depth=3
	s_or_b64 exec, exec, s[36:37]
	s_and_b64 vcc, exec, vcc
	s_or_b64 s[92:93], vcc, s[92:93]
	s_andn2_b64 s[94:95], s[94:95], exec
	s_and_b64 vcc, s[30:31], exec
	s_or_b64 s[94:95], s[94:95], vcc
	s_andn2_b64 exec, exec, s[92:93]
	s_cbranch_execz .LBB16_365
.LBB16_361:                             ;   Parent Loop BB16_73 Depth=1
                                        ;     Parent Loop BB16_329 Depth=2
                                        ; =>    This Inner Loop Header: Depth=3
	s_add_i32 s38, s38, 1
	s_cmpk_lg_i32 s38, 0x2710
	s_cselect_b64 s[34:35], -1, 0
	s_and_b64 vcc, exec, s[34:35]
	s_cbranch_vccz .LBB16_363
; %bb.362:                              ;   in Loop: Header=BB16_361 Depth=3
	s_mov_b64 vcc, -1
	s_or_b64 s[30:31], s[30:31], exec
	s_and_saveexec_b64 s[36:37], s[34:35]
	s_cbranch_execz .LBB16_360
	s_branch .LBB16_364
.LBB16_363:                             ;   in Loop: Header=BB16_361 Depth=3
	s_trap 2
	ds_read_b64 v[0:1], v0
	s_andn2_b64 s[34:35], s[34:35], exec
	s_mov_b32 s38, 0
	s_waitcnt lgkmcnt(0)
	flat_load_dword v0, v[0:1] glc
	s_waitcnt vmcnt(0) lgkmcnt(0)
	buffer_wbinvl1_vol
	v_cmp_eq_u32_e32 vcc, 0, v0
	s_and_b64 vcc, vcc, exec
	s_or_b64 s[34:35], s[34:35], vcc
	s_mov_b64 vcc, -1
	s_or_b64 s[30:31], s[30:31], exec
	s_and_saveexec_b64 s[36:37], s[34:35]
	s_cbranch_execz .LBB16_360
.LBB16_364:                             ;   in Loop: Header=BB16_361 Depth=3
	s_sleep 1
	s_trap 2
	ds_read_b64 v[0:1], v0
	s_waitcnt lgkmcnt(0)
	s_andn2_b64 s[30:31], s[30:31], exec
	v_cmp_ge_u64_e32 vcc, v[0:1], v[28:29]
	s_orn2_b64 vcc, vcc, exec
	s_branch .LBB16_360
.LBB16_365:                             ;   in Loop: Header=BB16_329 Depth=2
	s_or_b64 exec, exec, s[92:93]
	s_and_saveexec_b64 s[92:93], s[94:95]
	s_xor_b64 s[92:93], exec, s[92:93]
	s_cbranch_execz .LBB16_367
; %bb.366:                              ;   in Loop: Header=BB16_329 Depth=2
	ds_write_b32 v0, v13
	s_trap 2
.LBB16_367:                             ;   in Loop: Header=BB16_329 Depth=2
	s_or_b64 exec, exec, s[90:91]
	;;#ASMSTART
	s_wakeup
	;;#ASMEND
.LBB16_368:                             ;   in Loop: Header=BB16_329 Depth=2
	s_or_b64 exec, exec, s[88:89]
.LBB16_369:                             ;   in Loop: Header=BB16_329 Depth=2
	s_andn2_saveexec_b64 s[78:79], s[78:79]
	s_cbranch_execz .LBB16_371
; %bb.370:                              ;   in Loop: Header=BB16_329 Depth=2
	s_waitcnt vmcnt(0) lgkmcnt(0)
	buffer_wbinvl1_vol
	s_barrier
.LBB16_371:                             ;   in Loop: Header=BB16_329 Depth=2
	s_or_b64 exec, exec, s[78:79]
.LBB16_372:                             ;   in Loop: Header=BB16_329 Depth=2
	s_or_b64 exec, exec, s[28:29]
	s_trap 2
	ds_read_b32 v0, v0
	v_and_b32_e32 v1, 0x4000, v56
	v_cmp_ne_u32_e32 vcc, 0, v1
	s_xor_b64 s[28:29], s[10:11], -1
	s_and_b64 s[78:79], s[28:29], vcc
	s_and_saveexec_b64 s[28:29], s[78:79]
	s_cbranch_execz .LBB16_391
; %bb.373:                              ;   in Loop: Header=BB16_329 Depth=2
	s_and_saveexec_b64 s[78:79], s[58:59]
	s_xor_b64 s[78:79], exec, s[78:79]
	s_cbranch_execz .LBB16_388
; %bb.374:                              ;   in Loop: Header=BB16_329 Depth=2
	s_and_saveexec_b64 s[88:89], s[6:7]
	s_cbranch_execz .LBB16_387
; %bb.375:                              ;   in Loop: Header=BB16_329 Depth=2
	s_mov_b64 s[92:93], exec
	v_mbcnt_lo_u32_b32 v1, s92, 0
	v_mbcnt_hi_u32_b32 v1, s93, v1
	v_cmp_eq_u32_e32 vcc, 0, v1
	s_waitcnt vmcnt(0) lgkmcnt(0)
	buffer_wbinvl1_vol
	s_and_saveexec_b64 s[90:91], vcc
	s_cbranch_execz .LBB16_377
; %bb.376:                              ;   in Loop: Header=BB16_329 Depth=2
	s_bcnt1_i32_b64 s92, s[92:93]
	v_mov_b32_e32 v17, s92
	ds_add_u64 v0, v[17:18]
	s_trap 2
.LBB16_377:                             ;   in Loop: Header=BB16_329 Depth=2
	s_or_b64 exec, exec, s[90:91]
	s_trap 2
	ds_read_b64 v[3:4], v0
	s_waitcnt lgkmcnt(0)
	v_add_co_u32_e32 v28, vcc, v28, v62
	v_addc_co_u32_e32 v29, vcc, 0, v29, vcc
	v_cmp_lt_u64_e32 vcc, v[3:4], v[28:29]
	s_and_saveexec_b64 s[90:91], vcc
	s_cbranch_execz .LBB16_386
; %bb.378:                              ;   in Loop: Header=BB16_329 Depth=2
	s_mov_b32 s38, 0
	s_mov_b64 s[92:93], 0
                                        ; implicit-def: $sgpr94_sgpr95
                                        ; implicit-def: $sgpr30_sgpr31
	s_branch .LBB16_380
.LBB16_379:                             ;   in Loop: Header=BB16_380 Depth=3
	s_or_b64 exec, exec, s[36:37]
	s_and_b64 vcc, exec, vcc
	s_or_b64 s[92:93], vcc, s[92:93]
	s_andn2_b64 s[94:95], s[94:95], exec
	s_and_b64 vcc, s[30:31], exec
	s_or_b64 s[94:95], s[94:95], vcc
	s_andn2_b64 exec, exec, s[92:93]
	s_cbranch_execz .LBB16_384
.LBB16_380:                             ;   Parent Loop BB16_73 Depth=1
                                        ;     Parent Loop BB16_329 Depth=2
                                        ; =>    This Inner Loop Header: Depth=3
	s_add_i32 s38, s38, 1
	s_cmpk_lg_i32 s38, 0x2710
	s_cselect_b64 s[34:35], -1, 0
	s_and_b64 vcc, exec, s[34:35]
	s_cbranch_vccz .LBB16_382
; %bb.381:                              ;   in Loop: Header=BB16_380 Depth=3
	s_mov_b64 vcc, -1
	s_or_b64 s[30:31], s[30:31], exec
	s_and_saveexec_b64 s[36:37], s[34:35]
	s_cbranch_execz .LBB16_379
	s_branch .LBB16_383
.LBB16_382:                             ;   in Loop: Header=BB16_380 Depth=3
	s_trap 2
	ds_read_b64 v[3:4], v0
	s_andn2_b64 s[34:35], s[34:35], exec
	s_mov_b32 s38, 0
	s_waitcnt lgkmcnt(0)
	flat_load_dword v1, v[3:4] glc
	s_waitcnt vmcnt(0) lgkmcnt(0)
	buffer_wbinvl1_vol
	v_cmp_eq_u32_e32 vcc, 0, v1
	s_and_b64 vcc, vcc, exec
	s_or_b64 s[34:35], s[34:35], vcc
	s_mov_b64 vcc, -1
	s_or_b64 s[30:31], s[30:31], exec
	s_and_saveexec_b64 s[36:37], s[34:35]
	s_cbranch_execz .LBB16_379
.LBB16_383:                             ;   in Loop: Header=BB16_380 Depth=3
	s_sleep 1
	s_trap 2
	ds_read_b64 v[3:4], v0
	s_waitcnt lgkmcnt(0)
	s_andn2_b64 s[30:31], s[30:31], exec
	v_cmp_ge_u64_e32 vcc, v[3:4], v[28:29]
	s_orn2_b64 vcc, vcc, exec
	s_branch .LBB16_379
.LBB16_384:                             ;   in Loop: Header=BB16_329 Depth=2
	s_or_b64 exec, exec, s[92:93]
	s_and_saveexec_b64 s[92:93], s[94:95]
	s_xor_b64 s[92:93], exec, s[92:93]
	s_cbranch_execz .LBB16_386
; %bb.385:                              ;   in Loop: Header=BB16_329 Depth=2
	ds_write_b32 v0, v13
	s_trap 2
.LBB16_386:                             ;   in Loop: Header=BB16_329 Depth=2
	s_or_b64 exec, exec, s[90:91]
	;;#ASMSTART
	s_wakeup
	;;#ASMEND
.LBB16_387:                             ;   in Loop: Header=BB16_329 Depth=2
	s_or_b64 exec, exec, s[88:89]
.LBB16_388:                             ;   in Loop: Header=BB16_329 Depth=2
	s_andn2_saveexec_b64 s[78:79], s[78:79]
	s_cbranch_execz .LBB16_390
; %bb.389:                              ;   in Loop: Header=BB16_329 Depth=2
	s_waitcnt vmcnt(0) lgkmcnt(0)
	buffer_wbinvl1_vol
	s_barrier
.LBB16_390:                             ;   in Loop: Header=BB16_329 Depth=2
	s_or_b64 exec, exec, s[78:79]
.LBB16_391:                             ;   in Loop: Header=BB16_329 Depth=2
	s_or_b64 exec, exec, s[28:29]
	s_trap 2
	s_waitcnt lgkmcnt(0)
	ds_read_b64 v[3:4], v0
	s_waitcnt lgkmcnt(0)
	v_cmp_eq_u64_e32 vcc, 0, v[3:4]
	s_cbranch_vccnz .LBB16_399
; %bb.392:                              ;   in Loop: Header=BB16_329 Depth=2
	s_trap 2
	ds_read_b64 v[52:53], v0
	s_waitcnt lgkmcnt(0)
	v_cmp_eq_u64_e32 vcc, 0, v[52:53]
	s_cbranch_vccnz .LBB16_405
; %bb.393:                              ;   in Loop: Header=BB16_329 Depth=2
	s_mov_b64 s[28:29], -1
	s_and_saveexec_b64 s[78:79], s[14:15]
	s_cbranch_execz .LBB16_395
; %bb.394:                              ;   in Loop: Header=BB16_329 Depth=2
	ds_read_b32 v1, v0 offset:720
	s_waitcnt lgkmcnt(0)
	v_and_b32_e32 v1, 15, v1
	v_cmp_eq_u32_e32 vcc, 0, v1
	s_orn2_b64 s[28:29], vcc, exec
.LBB16_395:                             ;   in Loop: Header=BB16_329 Depth=2
	s_or_b64 exec, exec, s[78:79]
	s_and_saveexec_b64 s[78:79], s[24:25]
	s_cbranch_execz .LBB16_397
; %bb.396:                              ;   in Loop: Header=BB16_329 Depth=2
	ds_read_b32 v1, v0 offset:784
	s_waitcnt lgkmcnt(0)
	v_and_b32_e32 v1, 15, v1
	v_cmp_eq_u32_e32 vcc, 0, v1
	s_and_b64 s[88:89], s[28:29], vcc
	s_andn2_b64 s[28:29], s[28:29], exec
	s_and_b64 s[88:89], s[88:89], exec
	s_or_b64 s[28:29], s[28:29], s[88:89]
.LBB16_397:                             ;   in Loop: Header=BB16_329 Depth=2
	s_or_b64 exec, exec, s[78:79]
	v_cmp_eq_u32_e32 vcc, 0, v0
	s_xor_b64 s[28:29], s[28:29], -1
	v_cndmask_b32_e32 v0, 0, v2, vcc
	v_cndmask_b32_e64 v1, 0, 1, s[28:29]
	s_mov_b64 s[88:89], -1
	v_cmp_ne_u32_e32 vcc, 0, v1
	v_mov_b32_e32 v1, 0
	v_mov_b32_e32 v5, v0
	;; [unrolled: 1-line block ×4, first 2 shown]
	s_cbranch_vccz .LBB16_406
; %bb.398:                              ;   in Loop: Header=BB16_329 Depth=2
	s_and_saveexec_b64 s[28:29], s[88:89]
	s_cbranch_execnz .LBB16_419
	s_branch .LBB16_427
.LBB16_399:                             ;   in Loop: Header=BB16_329 Depth=2
	s_mov_b64 s[28:29], 0
	s_and_saveexec_b64 s[78:79], s[12:13]
	s_cbranch_execnz .LBB16_429
.LBB16_400:                             ;   in Loop: Header=BB16_329 Depth=2
	s_or_b64 exec, exec, s[78:79]
                                        ; implicit-def: $vgpr0
	s_and_saveexec_b64 s[78:79], s[18:19]
	s_xor_b64 s[78:79], exec, s[78:79]
	s_cbranch_execz .LBB16_447
.LBB16_401:                             ;   in Loop: Header=BB16_329 Depth=2
	v_and_b32_e32 v1, 16, v56
	v_cmp_ne_u32_e32 vcc, 0, v1
	v_and_b32_e32 v0, 16, v56
	s_and_b64 s[88:89], vcc, s[28:29]
	s_and_saveexec_b64 s[28:29], s[88:89]
	s_cbranch_execz .LBB16_403
; %bb.402:                              ;   in Loop: Header=BB16_329 Depth=2
	v_mov_b32_e32 v0, 1
	s_waitcnt vmcnt(0) lgkmcnt(0)
	buffer_wbinvl1_vol
.LBB16_403:                             ;   in Loop: Header=BB16_329 Depth=2
	s_or_b64 exec, exec, s[28:29]
	s_andn2_saveexec_b64 s[28:29], s[78:79]
	s_cbranch_execnz .LBB16_448
.LBB16_404:                             ;   in Loop: Header=BB16_329 Depth=2
	s_or_b64 exec, exec, s[28:29]
	v_cmp_ne_u32_e32 vcc, 0, v0
	s_and_saveexec_b64 s[28:29], vcc
	s_cbranch_execz .LBB16_328
	s_branch .LBB16_466
.LBB16_405:                             ;   in Loop: Header=BB16_329 Depth=2
	s_mov_b64 s[28:29], 0
	s_branch .LBB16_428
.LBB16_406:                             ;   in Loop: Header=BB16_329 Depth=2
	v_ashrrev_i32_e32 v1, 31, v0
	v_lshrrev_b32_e32 v1, 19, v1
	v_add_u32_e32 v1, v0, v1
	v_ashrrev_i32_e32 v1, 13, v1
	v_sub_u32_e32 v7, v1, v38
	v_cmp_lt_i32_e32 vcc, 0, v7
	s_and_saveexec_b64 s[78:79], vcc
	s_cbranch_execz .LBB16_410
; %bb.407:                              ;   in Loop: Header=BB16_329 Depth=2
	buffer_store_dword v48, off, s[0:3], s33 offset:60 ; 4-byte Folded Spill
	s_nop 0
	buffer_store_dword v49, off, s[0:3], s33 offset:64 ; 4-byte Folded Spill
	buffer_store_dword v28, off, s[0:3], s33 offset:148 ; 4-byte Folded Spill
	s_nop 0
	buffer_store_dword v29, off, s[0:3], s33 offset:152 ; 4-byte Folded Spill
	buffer_load_dword v47, off, s[0:3], s33 offset:172 ; 4-byte Folded Reload
	buffer_load_dword v61, off, s[0:3], s33 offset:176 ; 4-byte Folded Reload
	v_mov_b32_e32 v55, v53
	v_mov_b32_e32 v41, v4
	s_mov_b64 s[88:89], 0
	v_mov_b32_e32 v54, v52
	v_mov_b32_e32 v40, v3
	v_lshlrev_b32_e32 v23, 13, v62
.LBB16_408:                             ;   Parent Loop BB16_73 Depth=1
                                        ;     Parent Loop BB16_329 Depth=2
                                        ; =>    This Inner Loop Header: Depth=3
	s_waitcnt vmcnt(0)
	v_add_co_u32_e32 v5, vcc, v47, v40
	v_addc_co_u32_e32 v6, vcc, v61, v41, vcc
	global_load_dwordx4 v[8:11], v[5:6], off glc slc
	global_load_dwordx4 v[19:22], v[5:6], off offset:1024 glc slc
	global_load_dwordx4 v[26:29], v[5:6], off offset:2048 glc slc
	;; [unrolled: 1-line block ×3, first 2 shown]
	v_add_co_u32_e32 v5, vcc, s65, v5
	v_addc_co_u32_e32 v6, vcc, 0, v6, vcc
	global_load_dwordx4 v[43:46], v[5:6], off glc slc
	global_load_dwordx4 v[57:60], v[5:6], off offset:1024 glc slc
	global_load_dwordx4 v[48:51], v[5:6], off offset:2048 glc slc
	;; [unrolled: 1-line block ×3, first 2 shown]
	v_add_co_u32_e32 v5, vcc, v47, v54
	v_addc_co_u32_e32 v6, vcc, v61, v55, vcc
	v_add_co_u32_e32 v40, vcc, v40, v23
	v_addc_co_u32_e32 v41, vcc, 0, v41, vcc
	v_sub_u32_e32 v7, v7, v62
	v_add_co_u32_e32 v54, vcc, v54, v23
	v_addc_co_u32_e32 v55, vcc, 0, v55, vcc
	v_cmp_gt_i32_e64 s[28:29], 1, v7
	v_add_co_u32_e32 v16, vcc, s65, v5
	s_or_b64 s[88:89], s[28:29], s[88:89]
	v_addc_co_u32_e32 v17, vcc, 0, v6, vcc
	s_waitcnt vmcnt(7)
	global_store_dwordx4 v[5:6], v[8:11], off glc slc
	s_waitcnt vmcnt(7)
	global_store_dwordx4 v[5:6], v[19:22], off offset:1024 glc slc
	s_waitcnt vmcnt(7)
	global_store_dwordx4 v[5:6], v[26:29], off offset:2048 glc slc
	;; [unrolled: 2-line block ×3, first 2 shown]
	s_waitcnt vmcnt(7)
	global_store_dwordx4 v[16:17], v[43:46], off glc slc
	s_waitcnt vmcnt(7)
	global_store_dwordx4 v[16:17], v[57:60], off offset:1024 glc slc
	s_waitcnt vmcnt(7)
	global_store_dwordx4 v[16:17], v[48:51], off offset:2048 glc slc
	;; [unrolled: 2-line block ×3, first 2 shown]
	s_andn2_b64 exec, exec, s[88:89]
	s_cbranch_execnz .LBB16_408
; %bb.409:                              ;   in Loop: Header=BB16_329 Depth=2
	s_or_b64 exec, exec, s[88:89]
	buffer_load_dword v26, off, s[0:3], s33 offset:108 ; 4-byte Folded Reload
	buffer_load_dword v27, off, s[0:3], s33 offset:112 ; 4-byte Folded Reload
	;; [unrolled: 1-line block ×24, first 2 shown]
	v_lshlrev_b32_e32 v35, 12, v62
	v_lshlrev_b32_e32 v36, 10, v62
	v_mov_b32_e32 v13, 1
	v_mov_b32_e32 v39, 0xd0
	;; [unrolled: 1-line block ×3, first 2 shown]
.LBB16_410:                             ;   in Loop: Header=BB16_329 Depth=2
	s_or_b64 exec, exec, s[78:79]
	v_lshlrev_b32_e32 v8, 13, v1
	v_cmp_ne_u32_e32 vcc, v0, v8
	s_mov_b64 s[88:89], 0
	v_mov_b32_e32 v1, 0
                                        ; implicit-def: $vgpr5
                                        ; implicit-def: $vgpr6
                                        ; implicit-def: $vgpr9
	s_and_saveexec_b64 s[78:79], vcc
	s_cbranch_execz .LBB16_418
; %bb.411:                              ;   in Loop: Header=BB16_329 Depth=2
	buffer_load_dword v5, off, s[0:3], s33 offset:168 ; 4-byte Folded Reload
	v_lshlrev_b32_e32 v1, 6, v7
	v_sub_u32_e32 v6, v0, v8
	s_waitcnt vmcnt(0)
	v_ashrrev_i32_e32 v10, 31, v6
	v_lshrrev_b32_e32 v10, 22, v10
	v_add_u32_e32 v10, v6, v10
	v_mov_b32_e32 v17, v11
	v_ashrrev_i32_e32 v11, 10, v10
	v_and_b32_e32 v10, 0xfffffc00, v10
	v_sub_u32_e32 v12, v6, v10
	v_cmp_lt_i32_e32 vcc, 15, v12
	v_sub_u32_e32 v1, v5, v1
	v_ashrrev_i32_e32 v5, 31, v1
	v_lshrrev_b32_e32 v5, 26, v5
	v_add_u32_e32 v5, v1, v5
	v_ashrrev_i32_e32 v9, 6, v5
	v_and_b32_e32 v5, 0xffffffc0, v5
	v_sub_u32_e32 v7, v1, v5
	v_lshlrev_b32_e32 v1, 4, v7
	v_lshl_add_u32 v5, v9, 10, v1
	v_sub_u32_e32 v1, v6, v5
	v_addc_co_u32_e64 v6, s[28:29], 0, v11, vcc
	v_sub_u32_e32 v11, v6, v9
	v_cmp_lt_i32_e64 s[28:29], 15, v1
	s_and_saveexec_b64 s[88:89], s[28:29]
	s_cbranch_execz .LBB16_415
; %bb.412:                              ;   in Loop: Header=BB16_329 Depth=2
	v_add_u32_e32 v5, v5, v8
	v_ashrrev_i32_e32 v6, 31, v5
	s_mov_b64 s[90:91], 0
	v_mov_b32_e32 v9, v16
.LBB16_413:                             ;   Parent Loop BB16_73 Depth=1
                                        ;     Parent Loop BB16_329 Depth=2
                                        ; =>    This Inner Loop Header: Depth=3
	v_add_co_u32_e64 v13, s[28:29], v3, v5
	v_addc_co_u32_e64 v14, s[28:29], v4, v6, s[28:29]
	global_load_dwordx4 v[13:16], v[13:14], off glc slc
	v_add_co_u32_e64 v19, s[28:29], v52, v5
	v_addc_co_u32_e64 v20, s[28:29], v53, v6, s[28:29]
	v_add_co_u32_e64 v5, s[28:29], v5, v22
	v_sub_u32_e32 v1, v1, v36
	v_addc_co_u32_e64 v6, s[28:29], v6, v9, s[28:29]
	v_cmp_gt_i32_e64 s[28:29], 16, v1
	v_sub_u32_e32 v11, v11, v62
	s_or_b64 s[90:91], s[28:29], s[90:91]
	s_waitcnt vmcnt(0)
	global_store_dwordx4 v[19:20], v[13:16], off glc slc
	s_andn2_b64 exec, exec, s[90:91]
	s_cbranch_execnz .LBB16_413
; %bb.414:                              ;   in Loop: Header=BB16_329 Depth=2
	s_or_b64 exec, exec, s[90:91]
	buffer_load_dword v19, off, s[0:3], s33 offset:88 ; 4-byte Folded Reload
	buffer_load_dword v20, off, s[0:3], s33 offset:104 ; 4-byte Folded Reload
	;; [unrolled: 1-line block ×4, first 2 shown]
	v_mov_b32_e32 v16, v9
.LBB16_415:                             ;   in Loop: Header=BB16_329 Depth=2
	s_or_b64 exec, exec, s[88:89]
	v_and_b32_e32 v13, 15, v0
	v_cndmask_b32_e32 v5, v12, v13, vcc
	v_mov_b32_e32 v1, 0
	v_cmp_ne_u32_e64 s[28:29], 0, v5
	s_mov_b64 s[90:91], 0
                                        ; implicit-def: $vgpr6
                                        ; implicit-def: $vgpr9
	s_and_saveexec_b64 s[88:89], s[28:29]
	s_cbranch_execz .LBB16_417
; %bb.416:                              ;   in Loop: Header=BB16_329 Depth=2
	v_sub_u32_e32 v1, v12, v13
	v_cndmask_b32_e32 v1, 0, v1, vcc
	v_cmp_lt_i32_e32 vcc, 0, v11
	v_cndmask_b32_e32 v6, 0, v62, vcc
	v_sub_u32_e32 v6, v6, v11
	v_lshl_add_u32 v6, v6, 6, v7
	v_ashrrev_i32_e32 v7, 31, v6
	v_lshrrev_b32_e32 v7, 26, v7
	v_add_u32_e32 v7, v6, v7
	v_add3_u32 v1, v10, v8, v1
	v_ashrrev_i32_e32 v9, 6, v7
	s_mov_b64 s[90:91], exec
.LBB16_417:                             ;   in Loop: Header=BB16_329 Depth=2
	s_or_b64 exec, exec, s[88:89]
	buffer_load_dword v12, off, s[0:3], s33 offset:76 ; 4-byte Folded Reload
	buffer_load_dword v10, off, s[0:3], s33 offset:72 ; 4-byte Folded Reload
	s_and_b64 s[88:89], s[90:91], exec
	v_mov_b32_e32 v13, 1
	v_mov_b32_e32 v11, v17
.LBB16_418:                             ;   in Loop: Header=BB16_329 Depth=2
	s_or_b64 exec, exec, s[78:79]
	s_and_saveexec_b64 s[28:29], s[88:89]
	s_cbranch_execz .LBB16_427
.LBB16_419:                             ;   in Loop: Header=BB16_329 Depth=2
	v_ashrrev_i32_e32 v7, 31, v5
	v_lshrrev_b32_e32 v7, 21, v7
	v_add_u32_e32 v7, v5, v7
	v_ashrrev_i32_e32 v8, 11, v7
	v_sub_u32_e32 v7, v8, v9
	v_cmp_lt_i32_e32 vcc, 0, v7
	s_and_saveexec_b64 s[78:79], vcc
	s_cbranch_execz .LBB16_423
; %bb.420:                              ;   in Loop: Header=BB16_329 Depth=2
	s_waitcnt vmcnt(0)
	v_ashrrev_i32_e32 v10, 31, v6
	v_lshrrev_b32_e32 v10, 26, v10
	v_add_u32_e32 v10, v6, v10
	v_and_b32_e32 v10, 0xffffffc0, v10
	v_sub_u32_e32 v10, v6, v10
	v_lshlrev_b32_e32 v9, 11, v9
	v_mov_b32_e32 v58, v49
	v_mov_b32_e32 v47, v29
	v_add3_u32 v9, v1, v10, v9
	v_mov_b32_e32 v59, v11
	v_mov_b32_e32 v57, v48
	;; [unrolled: 1-line block ×3, first 2 shown]
	v_ashrrev_i32_e32 v10, 31, v9
	s_mov_b64 s[88:89], 0
	v_mov_b32_e32 v39, v23
.LBB16_421:                             ;   Parent Loop BB16_73 Depth=1
                                        ;     Parent Loop BB16_329 Depth=2
                                        ; =>    This Inner Loop Header: Depth=3
	v_add_co_u32_e32 v11, vcc, v9, v3
	v_addc_co_u32_e32 v12, vcc, v10, v4, vcc
	flat_load_ubyte v13, v[11:12] glc slc
	flat_load_ubyte v14, v[11:12] offset:64 glc slc
	flat_load_ubyte v15, v[11:12] offset:128 glc slc
	;; [unrolled: 1-line block ×31, first 2 shown]
	v_add_co_u32_e32 v11, vcc, v9, v52
	v_addc_co_u32_e32 v12, vcc, v10, v53, vcc
	v_add_co_u32_e32 v3, vcc, v3, v39
	v_addc_co_u32_e32 v4, vcc, 0, v4, vcc
	v_add_co_u32_e32 v52, vcc, v52, v39
	v_sub_u32_e32 v7, v7, v62
	v_addc_co_u32_e32 v53, vcc, 0, v53, vcc
	v_cmp_gt_i32_e32 vcc, 1, v7
	s_or_b64 s[88:89], vcc, s[88:89]
	s_waitcnt vmcnt(0) lgkmcnt(0)
	flat_store_byte v[11:12], v13 glc slc
	flat_store_byte v[11:12], v14 offset:64 glc slc
	flat_store_byte v[11:12], v15 offset:128 glc slc
	;; [unrolled: 1-line block ×31, first 2 shown]
	s_andn2_b64 exec, exec, s[88:89]
	s_cbranch_execnz .LBB16_421
; %bb.422:                              ;   in Loop: Header=BB16_329 Depth=2
	s_or_b64 exec, exec, s[88:89]
	buffer_load_dword v26, off, s[0:3], s33 offset:108 ; 4-byte Folded Reload
	buffer_load_dword v27, off, s[0:3], s33 offset:112 ; 4-byte Folded Reload
	;; [unrolled: 1-line block ×19, first 2 shown]
	s_waitcnt vmcnt(0)
	v_mov_b32_e32 v28, v46
	v_mov_b32_e32 v48, v57
	;; [unrolled: 1-line block ×3, first 2 shown]
	v_lshlrev_b32_e32 v35, 12, v62
	v_lshlrev_b32_e32 v36, 10, v62
	v_mov_b32_e32 v23, v39
	v_mov_b32_e32 v13, 1
	;; [unrolled: 1-line block ×7, first 2 shown]
.LBB16_423:                             ;   in Loop: Header=BB16_329 Depth=2
	s_or_b64 exec, exec, s[78:79]
	v_lshlrev_b32_e32 v3, 11, v8
	v_cmp_ne_u32_e32 vcc, v5, v3
	s_and_b64 exec, exec, vcc
	s_cbranch_execz .LBB16_427
; %bb.424:                              ;   in Loop: Header=BB16_329 Depth=2
	v_ashrrev_i32_e32 v4, 31, v6
	v_lshrrev_b32_e32 v4, 26, v4
	v_add_u32_e32 v4, v6, v4
	v_and_b32_e32 v4, 0xffffffc0, v4
	v_sub_u32_e32 v4, v6, v4
	v_lshlrev_b32_e32 v6, 6, v7
	v_sub_u32_e32 v4, v4, v6
	v_add_u32_e32 v3, v3, v4
	v_sub_u32_e32 v5, v5, v3
	v_cmp_lt_i32_e32 vcc, 0, v5
	s_and_b64 exec, exec, vcc
	s_cbranch_execz .LBB16_427
; %bb.425:                              ;   in Loop: Header=BB16_329 Depth=2
	v_add_u32_e32 v1, v3, v1
	s_trap 2
	ds_read_b64 v[3:4], v0
	v_ashrrev_i32_e32 v6, 31, v1
	s_mov_b64 s[78:79], 0
.LBB16_426:                             ;   Parent Loop BB16_73 Depth=1
                                        ;     Parent Loop BB16_329 Depth=2
                                        ; =>    This Inner Loop Header: Depth=3
	s_waitcnt lgkmcnt(0)
	v_add_co_u32_e32 v7, vcc, v3, v1
	v_addc_co_u32_e32 v8, vcc, v4, v6, vcc
	flat_load_ubyte v9, v[7:8] glc slc
	s_waitcnt vmcnt(0)
	v_add_co_u32_e32 v1, vcc, v1, v14
	v_sub_u32_e32 v5, v5, v19
	v_addc_co_u32_e32 v6, vcc, v6, v12, vcc
	v_cmp_gt_i32_e32 vcc, 1, v5
	s_or_b64 s[78:79], vcc, s[78:79]
	s_waitcnt lgkmcnt(0)
	flat_store_byte v[7:8], v9 glc slc
	s_andn2_b64 exec, exec, s[78:79]
	s_cbranch_execnz .LBB16_426
.LBB16_427:                             ;   in Loop: Header=BB16_329 Depth=2
	s_or_b64 exec, exec, s[28:29]
	v_cmp_lt_i32_e64 s[28:29], 0, v0
.LBB16_428:                             ;   in Loop: Header=BB16_329 Depth=2
	buffer_load_dword v21, off, s[0:3], s33 offset:172 ; 4-byte Folded Reload
	buffer_load_dword v34, off, s[0:3], s33 offset:176 ; 4-byte Folded Reload
	v_lshlrev_b32_e32 v52, 13, v62
	s_and_saveexec_b64 s[78:79], s[12:13]
	s_cbranch_execz .LBB16_400
.LBB16_429:                             ;   in Loop: Header=BB16_329 Depth=2
	s_and_saveexec_b64 s[88:89], s[58:59]
	s_xor_b64 s[88:89], exec, s[88:89]
	s_cbranch_execz .LBB16_444
; %bb.430:                              ;   in Loop: Header=BB16_329 Depth=2
	s_and_saveexec_b64 s[90:91], s[6:7]
	s_cbranch_execz .LBB16_443
; %bb.431:                              ;   in Loop: Header=BB16_329 Depth=2
	s_mov_b64 s[94:95], exec
	v_mbcnt_lo_u32_b32 v0, s94, 0
	v_mbcnt_hi_u32_b32 v0, s95, v0
	v_cmp_eq_u32_e32 vcc, 0, v0
	s_waitcnt vmcnt(0) lgkmcnt(0)
	buffer_wbinvl1_vol
	s_and_saveexec_b64 s[92:93], vcc
	s_cbranch_execz .LBB16_433
; %bb.432:                              ;   in Loop: Header=BB16_329 Depth=2
	s_bcnt1_i32_b64 s94, s[94:95]
	v_mov_b32_e32 v17, s94
	ds_add_u64 v0, v[17:18]
	s_trap 2
.LBB16_433:                             ;   in Loop: Header=BB16_329 Depth=2
	s_or_b64 exec, exec, s[92:93]
	s_trap 2
	ds_read_b64 v[0:1], v0
	s_waitcnt lgkmcnt(0)
	v_add_co_u32_e32 v28, vcc, v28, v62
	v_addc_co_u32_e32 v29, vcc, 0, v29, vcc
	v_cmp_lt_u64_e32 vcc, v[0:1], v[28:29]
	s_and_saveexec_b64 s[92:93], vcc
	s_cbranch_execz .LBB16_442
; %bb.434:                              ;   in Loop: Header=BB16_329 Depth=2
	s_mov_b32 s48, 0
	s_mov_b64 s[94:95], 0
                                        ; implicit-def: $sgpr30_sgpr31
                                        ; implicit-def: $sgpr34_sgpr35
	s_branch .LBB16_436
.LBB16_435:                             ;   in Loop: Header=BB16_436 Depth=3
	s_or_b64 exec, exec, s[38:39]
	s_and_b64 vcc, exec, vcc
	s_or_b64 s[94:95], vcc, s[94:95]
	s_andn2_b64 vcc, s[30:31], exec
	s_and_b64 s[30:31], s[34:35], exec
	s_or_b64 s[30:31], vcc, s[30:31]
	s_andn2_b64 exec, exec, s[94:95]
	s_cbranch_execz .LBB16_440
.LBB16_436:                             ;   Parent Loop BB16_73 Depth=1
                                        ;     Parent Loop BB16_329 Depth=2
                                        ; =>    This Inner Loop Header: Depth=3
	s_add_i32 s48, s48, 1
	s_cmpk_lg_i32 s48, 0x2710
	s_cselect_b64 s[36:37], -1, 0
	s_and_b64 vcc, exec, s[36:37]
	s_cbranch_vccz .LBB16_438
; %bb.437:                              ;   in Loop: Header=BB16_436 Depth=3
	s_mov_b64 vcc, -1
	s_or_b64 s[34:35], s[34:35], exec
	s_and_saveexec_b64 s[38:39], s[36:37]
	s_cbranch_execz .LBB16_435
	s_branch .LBB16_439
.LBB16_438:                             ;   in Loop: Header=BB16_436 Depth=3
	s_trap 2
	ds_read_b64 v[0:1], v0
	s_andn2_b64 s[36:37], s[36:37], exec
	s_mov_b32 s48, 0
	s_waitcnt lgkmcnt(0)
	flat_load_dword v0, v[0:1] glc
	s_waitcnt vmcnt(0) lgkmcnt(0)
	buffer_wbinvl1_vol
	v_cmp_eq_u32_e32 vcc, 0, v0
	s_and_b64 vcc, vcc, exec
	s_or_b64 s[36:37], s[36:37], vcc
	s_mov_b64 vcc, -1
	s_or_b64 s[34:35], s[34:35], exec
	s_and_saveexec_b64 s[38:39], s[36:37]
	s_cbranch_execz .LBB16_435
.LBB16_439:                             ;   in Loop: Header=BB16_436 Depth=3
	s_sleep 1
	s_trap 2
	ds_read_b64 v[0:1], v0
	s_waitcnt lgkmcnt(0)
	s_andn2_b64 s[34:35], s[34:35], exec
	v_cmp_ge_u64_e32 vcc, v[0:1], v[28:29]
	s_orn2_b64 vcc, vcc, exec
	s_branch .LBB16_435
.LBB16_440:                             ;   in Loop: Header=BB16_329 Depth=2
	s_or_b64 exec, exec, s[94:95]
	s_and_saveexec_b64 s[94:95], s[30:31]
	s_xor_b64 s[94:95], exec, s[94:95]
	s_cbranch_execz .LBB16_442
; %bb.441:                              ;   in Loop: Header=BB16_329 Depth=2
	ds_write_b32 v0, v13
	s_trap 2
.LBB16_442:                             ;   in Loop: Header=BB16_329 Depth=2
	s_or_b64 exec, exec, s[92:93]
	;;#ASMSTART
	s_wakeup
	;;#ASMEND
.LBB16_443:                             ;   in Loop: Header=BB16_329 Depth=2
	s_or_b64 exec, exec, s[90:91]
.LBB16_444:                             ;   in Loop: Header=BB16_329 Depth=2
	s_andn2_saveexec_b64 s[88:89], s[88:89]
	s_cbranch_execz .LBB16_446
; %bb.445:                              ;   in Loop: Header=BB16_329 Depth=2
	s_waitcnt vmcnt(0) lgkmcnt(0)
	buffer_wbinvl1_vol
	s_barrier
.LBB16_446:                             ;   in Loop: Header=BB16_329 Depth=2
	s_or_b64 exec, exec, s[88:89]
	s_or_b64 exec, exec, s[78:79]
                                        ; implicit-def: $vgpr0
	s_and_saveexec_b64 s[78:79], s[18:19]
	s_xor_b64 s[78:79], exec, s[78:79]
	s_cbranch_execnz .LBB16_401
.LBB16_447:                             ;   in Loop: Header=BB16_329 Depth=2
	s_andn2_saveexec_b64 s[28:29], s[78:79]
	s_cbranch_execz .LBB16_404
.LBB16_448:                             ;   in Loop: Header=BB16_329 Depth=2
	s_and_saveexec_b64 s[78:79], s[58:59]
	s_xor_b64 s[78:79], exec, s[78:79]
	s_cbranch_execz .LBB16_463
; %bb.449:                              ;   in Loop: Header=BB16_329 Depth=2
	s_and_saveexec_b64 s[88:89], s[6:7]
	s_cbranch_execz .LBB16_462
; %bb.450:                              ;   in Loop: Header=BB16_329 Depth=2
	s_mov_b64 s[92:93], exec
	v_mbcnt_lo_u32_b32 v0, s92, 0
	v_mbcnt_hi_u32_b32 v0, s93, v0
	v_cmp_eq_u32_e32 vcc, 0, v0
	;;#ASMSTART
	s_waitcnt lgkmcnt(0) vmcnt(0)
	;;#ASMEND
	s_and_saveexec_b64 s[90:91], vcc
	s_cbranch_execz .LBB16_452
; %bb.451:                              ;   in Loop: Header=BB16_329 Depth=2
	s_bcnt1_i32_b64 s92, s[92:93]
	v_mov_b32_e32 v17, s92
	s_waitcnt lgkmcnt(0)
	ds_add_u64 v0, v[17:18]
	s_trap 2
.LBB16_452:                             ;   in Loop: Header=BB16_329 Depth=2
	s_or_b64 exec, exec, s[90:91]
	s_trap 2
	ds_read_b64 v[0:1], v0
	s_waitcnt vmcnt(0) lgkmcnt(0)
	v_add_co_u32_e32 v28, vcc, v28, v62
	v_addc_co_u32_e32 v29, vcc, 0, v29, vcc
	v_cmp_lt_u64_e32 vcc, v[0:1], v[28:29]
	s_and_saveexec_b64 s[90:91], vcc
	s_cbranch_execz .LBB16_461
; %bb.453:                              ;   in Loop: Header=BB16_329 Depth=2
	s_mov_b32 s38, 0
	s_mov_b64 s[92:93], 0
                                        ; implicit-def: $sgpr94_sgpr95
                                        ; implicit-def: $sgpr30_sgpr31
	s_branch .LBB16_455
.LBB16_454:                             ;   in Loop: Header=BB16_455 Depth=3
	s_or_b64 exec, exec, s[36:37]
	s_and_b64 vcc, exec, vcc
	s_or_b64 s[92:93], vcc, s[92:93]
	s_andn2_b64 s[94:95], s[94:95], exec
	s_and_b64 vcc, s[30:31], exec
	s_or_b64 s[94:95], s[94:95], vcc
	s_andn2_b64 exec, exec, s[92:93]
	s_cbranch_execz .LBB16_459
.LBB16_455:                             ;   Parent Loop BB16_73 Depth=1
                                        ;     Parent Loop BB16_329 Depth=2
                                        ; =>    This Inner Loop Header: Depth=3
	s_add_i32 s38, s38, 1
	s_cmpk_lg_i32 s38, 0x2710
	s_cselect_b64 s[34:35], -1, 0
	s_and_b64 vcc, exec, s[34:35]
	s_cbranch_vccz .LBB16_457
; %bb.456:                              ;   in Loop: Header=BB16_455 Depth=3
	s_mov_b64 vcc, -1
	s_or_b64 s[30:31], s[30:31], exec
	s_and_saveexec_b64 s[36:37], s[34:35]
	s_cbranch_execz .LBB16_454
	s_branch .LBB16_458
.LBB16_457:                             ;   in Loop: Header=BB16_455 Depth=3
	s_trap 2
	ds_read_b64 v[0:1], v0
	s_andn2_b64 s[34:35], s[34:35], exec
	s_mov_b32 s38, 0
	s_waitcnt lgkmcnt(0)
	flat_load_dword v0, v[0:1] glc
	s_waitcnt vmcnt(0) lgkmcnt(0)
	buffer_wbinvl1_vol
	v_cmp_eq_u32_e32 vcc, 0, v0
	s_and_b64 vcc, vcc, exec
	s_or_b64 s[34:35], s[34:35], vcc
	s_mov_b64 vcc, -1
	s_or_b64 s[30:31], s[30:31], exec
	s_and_saveexec_b64 s[36:37], s[34:35]
	s_cbranch_execz .LBB16_454
.LBB16_458:                             ;   in Loop: Header=BB16_455 Depth=3
	s_sleep 1
	s_trap 2
	ds_read_b64 v[0:1], v0
	s_waitcnt lgkmcnt(0)
	s_andn2_b64 s[30:31], s[30:31], exec
	v_cmp_ge_u64_e32 vcc, v[0:1], v[28:29]
	s_orn2_b64 vcc, vcc, exec
	s_branch .LBB16_454
.LBB16_459:                             ;   in Loop: Header=BB16_329 Depth=2
	s_or_b64 exec, exec, s[92:93]
	s_and_saveexec_b64 s[92:93], s[94:95]
	s_xor_b64 s[92:93], exec, s[92:93]
	s_cbranch_execz .LBB16_461
; %bb.460:                              ;   in Loop: Header=BB16_329 Depth=2
	ds_write_b32 v0, v13
	s_trap 2
.LBB16_461:                             ;   in Loop: Header=BB16_329 Depth=2
	s_or_b64 exec, exec, s[90:91]
	;;#ASMSTART
	s_wakeup
	;;#ASMEND
.LBB16_462:                             ;   in Loop: Header=BB16_329 Depth=2
	s_or_b64 exec, exec, s[88:89]
.LBB16_463:                             ;   in Loop: Header=BB16_329 Depth=2
	s_andn2_saveexec_b64 s[78:79], s[78:79]
	s_cbranch_execz .LBB16_465
; %bb.464:                              ;   in Loop: Header=BB16_329 Depth=2
	;;#ASMSTART
	s_waitcnt lgkmcnt(0) vmcnt(0)
	;;#ASMEND
	s_waitcnt vmcnt(0) lgkmcnt(0)
	s_barrier
.LBB16_465:                             ;   in Loop: Header=BB16_329 Depth=2
	s_or_b64 exec, exec, s[78:79]
	v_and_b32_e32 v0, 16, v56
	s_or_b64 exec, exec, s[28:29]
	v_cmp_ne_u32_e32 vcc, 0, v0
	s_and_saveexec_b64 s[28:29], vcc
	s_cbranch_execz .LBB16_328
.LBB16_466:                             ;   in Loop: Header=BB16_329 Depth=2
	s_and_saveexec_b64 s[78:79], s[22:23]
	s_cbranch_execz .LBB16_327
; %bb.467:                              ;   in Loop: Header=BB16_329 Depth=2
	flat_store_dword v[30:31], v13
	s_branch .LBB16_327
.LBB16_468:                             ;   in Loop: Header=BB16_73 Depth=1
	s_or_b64 exec, exec, s[40:41]
	s_andn2_b64 vcc, exec, s[62:63]
	s_cbranch_vccnz .LBB16_804
.LBB16_469:                             ;   in Loop: Header=BB16_73 Depth=1
	s_mov_b32 s50, 1
.LBB16_470:                             ;   Parent Loop BB16_73 Depth=1
                                        ; =>  This Loop Header: Depth=2
                                        ;       Child Loop BB16_473 Depth 3
                                        ;         Child Loop BB16_481 Depth 4
                                        ;         Child Loop BB16_509 Depth 4
	;; [unrolled: 1-line block ×9, first 2 shown]
                                        ;           Child Loop BB16_563 Depth 5
                                        ;         Child Loop BB16_572 Depth 4
                                        ;         Child Loop BB16_577 Depth 4
                                        ;           Child Loop BB16_578 Depth 5
                                        ;         Child Loop BB16_616 Depth 4
                                        ;         Child Loop BB16_635 Depth 4
                                        ;       Child Loop BB16_653 Depth 3
                                        ;         Child Loop BB16_659 Depth 4
                                        ;         Child Loop BB16_687 Depth 4
	;; [unrolled: 1-line block ×3, first 2 shown]
	v_mov_b32_e32 v0, 0
	s_waitcnt vmcnt(0)
	v_mov_b32_e32 v52, v54
	v_mov_b32_e32 v57, 0
	s_and_saveexec_b64 s[74:75], s[26:27]
	s_cbranch_execz .LBB16_650
; %bb.471:                              ;   in Loop: Header=BB16_470 Depth=2
	buffer_load_dword v2, off, s[0:3], s33 offset:200 ; 4-byte Folded Reload
	buffer_load_dword v3, off, s[0:3], s33 offset:204 ; 4-byte Folded Reload
	s_sub_i32 s28, s52, s50
	s_ashr_i32 s29, s28, 31
	s_lshl_b64 s[28:29], s[28:29], 2
	v_mov_b32_e32 v1, s29
	v_mov_b32_e32 v4, v54
	s_mov_b32 s51, 1
	s_mov_b64 s[78:79], -1
	v_mov_b32_e32 v57, 0
	s_mov_b64 s[76:77], 0
	v_mov_b32_e32 v52, v4
	s_waitcnt vmcnt(0)
	v_add_co_u32_e32 v0, vcc, s28, v2
	v_addc_co_u32_e32 v1, vcc, v3, v1, vcc
	flat_load_dword v0, v[0:1]
	s_waitcnt vmcnt(0) lgkmcnt(0)
	v_ashrrev_i32_e32 v1, 31, v0
	buffer_load_dword v2, off, s[0:3], s33 offset:212 ; 4-byte Folded Reload
	buffer_load_dword v3, off, s[0:3], s33 offset:208 ; 4-byte Folded Reload
	buffer_load_dword v5, off, s[0:3], s33 offset:180 ; 4-byte Folded Reload
	buffer_load_dword v6, off, s[0:3], s33 offset:184 ; 4-byte Folded Reload
	s_waitcnt vmcnt(3)
	v_mul_lo_u32 v2, v2, v0
	s_waitcnt vmcnt(0)
	v_mad_u64_u32 v[54:55], s[28:29], v3, v0, v[5:6]
	v_mul_lo_u32 v0, v3, v1
	v_add3_u32 v55, v2, v55, v0
	s_branch .LBB16_473
.LBB16_472:                             ;   in Loop: Header=BB16_473 Depth=3
	s_or_b64 exec, exec, s[28:29]
	v_add_u32_e32 v57, v52, v57
	s_waitcnt vmcnt(0)
	v_cmp_ge_i32_e32 vcc, v57, v10
	s_xor_b64 s[28:29], s[78:79], -1
	s_or_b64 s[28:29], s[28:29], vcc
	s_and_b64 s[28:29], exec, s[28:29]
	s_or_b64 s[76:77], s[28:29], s[76:77]
	s_mov_b64 s[78:79], 0
	v_mov_b32_e32 v0, s51
	s_mov_b32 s51, 2
	s_andn2_b64 exec, exec, s[76:77]
	s_cbranch_execz .LBB16_725
.LBB16_473:                             ;   Parent Loop BB16_73 Depth=1
                                        ;     Parent Loop BB16_470 Depth=2
                                        ; =>    This Loop Header: Depth=3
                                        ;         Child Loop BB16_481 Depth 4
                                        ;         Child Loop BB16_509 Depth 4
	;; [unrolled: 1-line block ×9, first 2 shown]
                                        ;           Child Loop BB16_563 Depth 5
                                        ;         Child Loop BB16_572 Depth 4
                                        ;         Child Loop BB16_577 Depth 4
                                        ;           Child Loop BB16_578 Depth 5
                                        ;         Child Loop BB16_616 Depth 4
                                        ;         Child Loop BB16_635 Depth 4
	s_and_saveexec_b64 s[28:29], s[4:5]
	s_cbranch_execz .LBB16_475
; %bb.474:                              ;   in Loop: Header=BB16_473 Depth=3
	s_trap 2
	ds_read_b128 v[0:3], v0
	v_ashrrev_i32_e32 v4, 31, v57
	s_waitcnt lgkmcnt(0)
	v_add_co_u32_e32 v0, vcc, v0, v54
	v_addc_co_u32_e32 v1, vcc, v1, v55, vcc
	v_add_co_u32_e32 v0, vcc, v0, v57
	v_addc_co_u32_e32 v1, vcc, v1, v4, vcc
	ds_write_b64 v0, v[0:1]
	v_add_co_u32_e32 v0, vcc, v2, v54
	v_addc_co_u32_e32 v1, vcc, v3, v55, vcc
	v_add_co_u32_e32 v0, vcc, v0, v57
	v_addc_co_u32_e32 v1, vcc, v1, v4, vcc
	v_cmp_ne_u64_e32 vcc, 0, v[2:3]
	v_cndmask_b32_e32 v1, 0, v1, vcc
	v_cndmask_b32_e32 v0, 0, v0, vcc
	ds_write_b64 v0, v[0:1]
.LBB16_475:                             ;   in Loop: Header=BB16_473 Depth=3
	s_or_b64 exec, exec, s[28:29]
	v_sub_u32_e32 v0, v10, v57
	v_min_i32_e32 v52, v52, v0
	v_and_b32_e32 v0, 12, v56
	v_cmp_ne_u32_e32 vcc, 0, v0
	s_and_saveexec_b64 s[40:41], vcc
	s_cbranch_execz .LBB16_501
; %bb.476:                              ;   in Loop: Header=BB16_473 Depth=3
	v_and_b32_e32 v0, 8, v56
	v_add_co_u32_e32 v4, vcc, v32, v0
	v_addc_co_u32_e32 v5, vcc, 0, v33, vcc
	v_add_co_u32_e32 v2, vcc, 2, v48
	v_addc_co_u32_e32 v3, vcc, 0, v49, vcc
	v_cmp_lt_u64_e32 vcc, v[4:5], v[2:3]
	s_and_saveexec_b64 s[42:43], vcc
	s_cbranch_execz .LBB16_488
; %bb.477:                              ;   in Loop: Header=BB16_473 Depth=3
	v_and_b32_e32 v1, 64, v56
	s_mov_b32 s67, 0
	v_cmp_eq_u32_e32 vcc, 0, v1
	s_mov_b64 s[88:89], 0
                                        ; implicit-def: $sgpr90_sgpr91
                                        ; implicit-def: $sgpr92_sgpr93
                                        ; implicit-def: $sgpr94_sgpr95
	s_branch .LBB16_481
.LBB16_478:                             ;   in Loop: Header=BB16_481 Depth=4
	s_waitcnt vmcnt(0) lgkmcnt(0)
	v_add_co_u32_e64 v4, s[28:29], v32, v0
	v_addc_co_u32_e64 v5, s[28:29], 0, v33, s[28:29]
	v_cmp_ge_u64_e64 s[28:29], v[4:5], v[2:3]
	s_or_b64 s[36:37], s[36:37], exec
	s_orn2_b64 s[34:35], s[28:29], exec
.LBB16_479:                             ;   in Loop: Header=BB16_481 Depth=4
	s_or_b64 exec, exec, s[48:49]
	s_andn2_b64 s[28:29], s[94:95], exec
	s_and_b64 s[94:95], s[36:37], exec
	s_or_b64 s[94:95], s[28:29], s[94:95]
	s_andn2_b64 s[28:29], s[92:93], exec
	s_and_b64 s[92:93], s[34:35], exec
	s_or_b64 s[92:93], s[28:29], s[92:93]
.LBB16_480:                             ;   in Loop: Header=BB16_481 Depth=4
	s_or_b64 exec, exec, s[30:31]
	s_and_b64 s[28:29], exec, s[92:93]
	s_or_b64 s[88:89], s[28:29], s[88:89]
	s_andn2_b64 s[28:29], s[90:91], exec
	s_and_b64 s[90:91], s[94:95], exec
	s_or_b64 s[90:91], s[28:29], s[90:91]
	s_andn2_b64 exec, exec, s[88:89]
	s_cbranch_execz .LBB16_485
.LBB16_481:                             ;   Parent Loop BB16_73 Depth=1
                                        ;     Parent Loop BB16_470 Depth=2
                                        ;       Parent Loop BB16_473 Depth=3
                                        ; =>      This Inner Loop Header: Depth=4
	s_sleep 1
	s_waitcnt vmcnt(0) lgkmcnt(0)
	flat_load_dwordx2 v[32:33], v[24:25] glc
	s_or_b64 s[94:95], s[94:95], exec
	s_or_b64 s[92:93], s[92:93], exec
                                        ; implicit-def: $vgpr1
	s_and_saveexec_b64 s[30:31], vcc
	s_cbranch_execz .LBB16_480
; %bb.482:                              ;   in Loop: Header=BB16_481 Depth=4
	s_cmpk_lt_i32 s67, 0x270f
	s_cselect_b64 s[38:39], -1, 0
	s_cmpk_gt_i32 s67, 0x270e
	s_mov_b64 s[34:35], -1
	s_cbranch_scc0 .LBB16_484
; %bb.483:                              ;   in Loop: Header=BB16_481 Depth=4
	s_trap 2
	ds_read_b64 v[4:5], v0
	s_andn2_b64 s[38:39], s[38:39], exec
	s_mov_b32 s67, 0
	s_mov_b64 s[36:37], 0
	s_waitcnt vmcnt(0) lgkmcnt(0)
	flat_load_dword v1, v[4:5] glc
	s_waitcnt vmcnt(0) lgkmcnt(0)
	buffer_wbinvl1_vol
	v_cmp_eq_u32_e64 s[28:29], 0, v1
	s_and_b64 s[28:29], s[28:29], exec
	s_or_b64 s[38:39], s[38:39], s[28:29]
	s_and_saveexec_b64 s[48:49], s[38:39]
	s_cbranch_execz .LBB16_479
	s_branch .LBB16_478
.LBB16_484:                             ;   in Loop: Header=BB16_481 Depth=4
	s_add_i32 s67, s67, 1
	s_mov_b64 s[36:37], -1
                                        ; implicit-def: $vgpr1
	s_and_saveexec_b64 s[48:49], s[38:39]
	s_cbranch_execz .LBB16_479
	s_branch .LBB16_478
.LBB16_485:                             ;   in Loop: Header=BB16_473 Depth=3
	s_or_b64 exec, exec, s[88:89]
	s_xor_b64 s[28:29], s[90:91], -1
	s_and_saveexec_b64 s[88:89], s[28:29]
	s_xor_b64 s[28:29], exec, s[88:89]
	s_cbranch_execz .LBB16_487
; %bb.486:                              ;   in Loop: Header=BB16_473 Depth=3
	v_or_b32_e32 v56, 64, v56
	s_waitcnt lgkmcnt(0)
	ds_write_b32 v0, v1
	s_trap 2
.LBB16_487:                             ;   in Loop: Header=BB16_473 Depth=3
	s_or_b64 exec, exec, s[28:29]
.LBB16_488:                             ;   in Loop: Header=BB16_473 Depth=3
	s_or_b64 exec, exec, s[42:43]
	v_and_b32_e32 v1, 0x108, v56
	v_cmp_ne_u32_e32 vcc, s66, v1
	;;#ASMSTART
	s_wakeup
	;;#ASMEND
	s_and_saveexec_b64 s[28:29], vcc
	s_xor_b64 s[28:29], exec, s[28:29]
                                        ; implicit-def: $vgpr1
; %bb.489:                              ;   in Loop: Header=BB16_473 Depth=3
	v_and_b32_e32 v1, 7, v48
                                        ; implicit-def: $vgpr48_vgpr49
; %bb.490:                              ;   in Loop: Header=BB16_473 Depth=3
	s_andn2_saveexec_b64 s[28:29], s[28:29]
	s_cbranch_execz .LBB16_492
; %bb.491:                              ;   in Loop: Header=BB16_473 Depth=3
	v_and_b32_e32 v1, 7, v48
	v_mad_u64_u32 v[4:5], s[42:43], v1, 24, v[26:27]
	v_ashrrev_i32_e32 v53, 31, v52
	flat_store_dwordx2 v[4:5], v[52:53] offset:8
.LBB16_492:                             ;   in Loop: Header=BB16_473 Depth=3
	s_or_b64 exec, exec, s[28:29]
	v_and_b32_e32 v4, 0x100, v56
	v_cmp_ne_u32_e32 vcc, 0, v4
	s_mov_b64 s[28:29], -1
                                        ; implicit-def: $vgpr4_vgpr5
	s_and_saveexec_b64 s[42:43], vcc
	s_cbranch_execz .LBB16_496
; %bb.493:                              ;   in Loop: Header=BB16_473 Depth=3
	v_mad_u64_u32 v[48:49], s[28:29], v1, 24, v[26:27]
	v_mov_b32_e32 v4, v49
	v_mad_u64_u32 v[4:5], s[28:29], v18, 24, v[4:5]
	v_mov_b32_e32 v49, v4
	flat_load_dword v4, v[48:49]
	s_waitcnt vmcnt(0) lgkmcnt(0)
	v_cmp_ne_u32_e32 vcc, 1, v4
	v_cmp_eq_u32_e64 s[28:29], 1, v4
                                        ; implicit-def: $vgpr4_vgpr5
	s_and_saveexec_b64 s[88:89], s[28:29]
	s_cbranch_execz .LBB16_495
; %bb.494:                              ;   in Loop: Header=BB16_473 Depth=3
	flat_load_dword v4, v[48:49] offset:4 glc
	s_waitcnt vmcnt(0) lgkmcnt(0)
	v_ashrrev_i32_e32 v5, 31, v4
.LBB16_495:                             ;   in Loop: Header=BB16_473 Depth=3
	s_or_b64 exec, exec, s[88:89]
	s_orn2_b64 s[28:29], vcc, exec
.LBB16_496:                             ;   in Loop: Header=BB16_473 Depth=3
	s_or_b64 exec, exec, s[42:43]
	s_and_saveexec_b64 s[42:43], s[28:29]
	s_cbranch_execz .LBB16_498
; %bb.497:                              ;   in Loop: Header=BB16_473 Depth=3
	buffer_load_dword v4, off, s[0:3], s33 offset:68 ; 4-byte Folded Reload
	v_mul_lo_u32 v7, v1, v58
	s_waitcnt vmcnt(0)
	v_mul_lo_u32 v6, v18, v4
	v_mad_u64_u32 v[4:5], s[28:29], v1, v4, 0
	v_add3_u32 v5, v5, v7, v6
.LBB16_498:                             ;   in Loop: Header=BB16_473 Depth=3
	s_or_b64 exec, exec, s[42:43]
	v_cmp_eq_u32_e32 vcc, 0, v0
	v_cndmask_b32_e32 v6, v39, v50, vcc
	v_add_co_u32_e32 v0, vcc, v60, v4
	v_addc_co_u32_e32 v1, vcc, v61, v5, vcc
	v_add_u32_e32 v4, v0, v6
	ds_write_b64 v4, v[0:1] offset:584
	v_and_b32_e32 v0, 0x2000, v56
	v_cmp_ne_u32_e32 vcc, 0, v0
	s_and_saveexec_b64 s[28:29], vcc
	s_cbranch_execz .LBB16_500
; %bb.499:                              ;   in Loop: Header=BB16_473 Depth=3
	ds_read_b64 v[0:1], v0 offset:872
	s_waitcnt lgkmcnt(0)
	v_add_co_u32_e32 v0, vcc, 1, v0
	v_addc_co_u32_e32 v1, vcc, 0, v1, vcc
	ds_write_b64 v0, v[0:1] offset:872
.LBB16_500:                             ;   in Loop: Header=BB16_473 Depth=3
	s_or_b64 exec, exec, s[28:29]
	v_mov_b32_e32 v49, v3
	v_mov_b32_e32 v48, v2
.LBB16_501:                             ;   in Loop: Header=BB16_473 Depth=3
	s_or_b64 exec, exec, s[40:41]
	s_and_saveexec_b64 s[28:29], s[12:13]
	s_cbranch_execz .LBB16_520
; %bb.502:                              ;   in Loop: Header=BB16_473 Depth=3
	s_and_saveexec_b64 s[40:41], s[58:59]
	s_xor_b64 s[40:41], exec, s[40:41]
	s_cbranch_execz .LBB16_517
; %bb.503:                              ;   in Loop: Header=BB16_473 Depth=3
	s_and_saveexec_b64 s[42:43], s[6:7]
	s_cbranch_execz .LBB16_516
; %bb.504:                              ;   in Loop: Header=BB16_473 Depth=3
	s_mov_b64 s[90:91], exec
	v_mbcnt_lo_u32_b32 v0, s90, 0
	v_mbcnt_hi_u32_b32 v0, s91, v0
	v_cmp_eq_u32_e32 vcc, 0, v0
	s_waitcnt vmcnt(0) lgkmcnt(0)
	buffer_wbinvl1_vol
	s_and_saveexec_b64 s[88:89], vcc
	s_cbranch_execz .LBB16_506
; %bb.505:                              ;   in Loop: Header=BB16_473 Depth=3
	s_bcnt1_i32_b64 s90, s[90:91]
	v_mov_b32_e32 v17, s90
	ds_add_u64 v0, v[17:18]
	s_trap 2
.LBB16_506:                             ;   in Loop: Header=BB16_473 Depth=3
	s_or_b64 exec, exec, s[88:89]
	s_trap 2
	ds_read_b64 v[0:1], v0
	s_waitcnt lgkmcnt(0)
	v_add_co_u32_e32 v28, vcc, v28, v62
	v_addc_co_u32_e32 v29, vcc, 0, v29, vcc
	v_cmp_lt_u64_e32 vcc, v[0:1], v[28:29]
	s_and_saveexec_b64 s[88:89], vcc
	s_cbranch_execz .LBB16_515
; %bb.507:                              ;   in Loop: Header=BB16_473 Depth=3
	s_mov_b32 s36, 0
	s_mov_b64 s[90:91], 0
                                        ; implicit-def: $sgpr92_sgpr93
                                        ; implicit-def: $sgpr94_sgpr95
	s_branch .LBB16_509
.LBB16_508:                             ;   in Loop: Header=BB16_509 Depth=4
	s_or_b64 exec, exec, s[34:35]
	s_and_b64 vcc, exec, vcc
	s_or_b64 s[90:91], vcc, s[90:91]
	s_andn2_b64 s[92:93], s[92:93], exec
	s_and_b64 vcc, s[94:95], exec
	s_or_b64 s[92:93], s[92:93], vcc
	s_andn2_b64 exec, exec, s[90:91]
	s_cbranch_execz .LBB16_513
.LBB16_509:                             ;   Parent Loop BB16_73 Depth=1
                                        ;     Parent Loop BB16_470 Depth=2
                                        ;       Parent Loop BB16_473 Depth=3
                                        ; =>      This Inner Loop Header: Depth=4
	s_add_i32 s36, s36, 1
	s_cmpk_lg_i32 s36, 0x2710
	s_cselect_b64 s[30:31], -1, 0
	s_and_b64 vcc, exec, s[30:31]
	s_cbranch_vccz .LBB16_511
; %bb.510:                              ;   in Loop: Header=BB16_509 Depth=4
	s_mov_b64 vcc, -1
	s_or_b64 s[94:95], s[94:95], exec
	s_and_saveexec_b64 s[34:35], s[30:31]
	s_cbranch_execz .LBB16_508
	s_branch .LBB16_512
.LBB16_511:                             ;   in Loop: Header=BB16_509 Depth=4
	s_trap 2
	ds_read_b64 v[0:1], v0
	s_andn2_b64 s[30:31], s[30:31], exec
	s_mov_b32 s36, 0
	s_waitcnt lgkmcnt(0)
	flat_load_dword v0, v[0:1] glc
	s_waitcnt vmcnt(0) lgkmcnt(0)
	buffer_wbinvl1_vol
	v_cmp_eq_u32_e32 vcc, 0, v0
	s_and_b64 vcc, vcc, exec
	s_or_b64 s[30:31], s[30:31], vcc
	s_mov_b64 vcc, -1
	s_or_b64 s[94:95], s[94:95], exec
	s_and_saveexec_b64 s[34:35], s[30:31]
	s_cbranch_execz .LBB16_508
.LBB16_512:                             ;   in Loop: Header=BB16_509 Depth=4
	s_sleep 1
	s_trap 2
	ds_read_b64 v[0:1], v0
	s_waitcnt lgkmcnt(0)
	s_andn2_b64 s[94:95], s[94:95], exec
	v_cmp_ge_u64_e32 vcc, v[0:1], v[28:29]
	s_orn2_b64 vcc, vcc, exec
	s_branch .LBB16_508
.LBB16_513:                             ;   in Loop: Header=BB16_473 Depth=3
	s_or_b64 exec, exec, s[90:91]
	s_and_saveexec_b64 s[90:91], s[92:93]
	s_xor_b64 s[90:91], exec, s[90:91]
	s_cbranch_execz .LBB16_515
; %bb.514:                              ;   in Loop: Header=BB16_473 Depth=3
	ds_write_b32 v0, v13
	s_trap 2
.LBB16_515:                             ;   in Loop: Header=BB16_473 Depth=3
	s_or_b64 exec, exec, s[88:89]
	;;#ASMSTART
	s_wakeup
	;;#ASMEND
.LBB16_516:                             ;   in Loop: Header=BB16_473 Depth=3
	s_or_b64 exec, exec, s[42:43]
.LBB16_517:                             ;   in Loop: Header=BB16_473 Depth=3
	s_andn2_saveexec_b64 s[40:41], s[40:41]
	s_cbranch_execz .LBB16_519
; %bb.518:                              ;   in Loop: Header=BB16_473 Depth=3
	s_waitcnt vmcnt(0) lgkmcnt(0)
	buffer_wbinvl1_vol
	s_barrier
.LBB16_519:                             ;   in Loop: Header=BB16_473 Depth=3
	s_or_b64 exec, exec, s[40:41]
.LBB16_520:                             ;   in Loop: Header=BB16_473 Depth=3
	s_or_b64 exec, exec, s[28:29]
	s_trap 2
	ds_read_b32 v0, v0
	v_and_b32_e32 v1, 0x4000, v56
	v_cmp_ne_u32_e32 vcc, 0, v1
	s_xor_b64 s[28:29], s[10:11], -1
	s_and_b64 s[40:41], s[28:29], vcc
	s_and_saveexec_b64 s[28:29], s[40:41]
	s_cbranch_execz .LBB16_539
; %bb.521:                              ;   in Loop: Header=BB16_473 Depth=3
	s_and_saveexec_b64 s[40:41], s[58:59]
	s_xor_b64 s[40:41], exec, s[40:41]
	s_cbranch_execz .LBB16_536
; %bb.522:                              ;   in Loop: Header=BB16_473 Depth=3
	s_and_saveexec_b64 s[42:43], s[6:7]
	s_cbranch_execz .LBB16_535
; %bb.523:                              ;   in Loop: Header=BB16_473 Depth=3
	s_mov_b64 s[90:91], exec
	v_mbcnt_lo_u32_b32 v1, s90, 0
	v_mbcnt_hi_u32_b32 v1, s91, v1
	v_cmp_eq_u32_e32 vcc, 0, v1
	s_waitcnt vmcnt(0) lgkmcnt(0)
	buffer_wbinvl1_vol
	s_and_saveexec_b64 s[88:89], vcc
	s_cbranch_execz .LBB16_525
; %bb.524:                              ;   in Loop: Header=BB16_473 Depth=3
	s_bcnt1_i32_b64 s90, s[90:91]
	v_mov_b32_e32 v17, s90
	ds_add_u64 v0, v[17:18]
	s_trap 2
.LBB16_525:                             ;   in Loop: Header=BB16_473 Depth=3
	s_or_b64 exec, exec, s[88:89]
	s_trap 2
	ds_read_b64 v[1:2], v0
	s_waitcnt lgkmcnt(0)
	v_add_co_u32_e32 v28, vcc, v28, v62
	v_addc_co_u32_e32 v29, vcc, 0, v29, vcc
	v_cmp_lt_u64_e32 vcc, v[1:2], v[28:29]
	s_and_saveexec_b64 s[88:89], vcc
	s_cbranch_execz .LBB16_534
; %bb.526:                              ;   in Loop: Header=BB16_473 Depth=3
	s_mov_b32 s36, 0
	s_mov_b64 s[90:91], 0
                                        ; implicit-def: $sgpr92_sgpr93
                                        ; implicit-def: $sgpr94_sgpr95
	s_branch .LBB16_528
.LBB16_527:                             ;   in Loop: Header=BB16_528 Depth=4
	s_or_b64 exec, exec, s[34:35]
	s_and_b64 vcc, exec, vcc
	s_or_b64 s[90:91], vcc, s[90:91]
	s_andn2_b64 s[92:93], s[92:93], exec
	s_and_b64 vcc, s[94:95], exec
	s_or_b64 s[92:93], s[92:93], vcc
	s_andn2_b64 exec, exec, s[90:91]
	s_cbranch_execz .LBB16_532
.LBB16_528:                             ;   Parent Loop BB16_73 Depth=1
                                        ;     Parent Loop BB16_470 Depth=2
                                        ;       Parent Loop BB16_473 Depth=3
                                        ; =>      This Inner Loop Header: Depth=4
	s_add_i32 s36, s36, 1
	s_cmpk_lg_i32 s36, 0x2710
	s_cselect_b64 s[30:31], -1, 0
	s_and_b64 vcc, exec, s[30:31]
	s_cbranch_vccz .LBB16_530
; %bb.529:                              ;   in Loop: Header=BB16_528 Depth=4
	s_mov_b64 vcc, -1
	s_or_b64 s[94:95], s[94:95], exec
	s_and_saveexec_b64 s[34:35], s[30:31]
	s_cbranch_execz .LBB16_527
	s_branch .LBB16_531
.LBB16_530:                             ;   in Loop: Header=BB16_528 Depth=4
	s_trap 2
	ds_read_b64 v[1:2], v0
	s_andn2_b64 s[30:31], s[30:31], exec
	s_mov_b32 s36, 0
	s_waitcnt lgkmcnt(0)
	flat_load_dword v1, v[1:2] glc
	s_waitcnt vmcnt(0) lgkmcnt(0)
	buffer_wbinvl1_vol
	v_cmp_eq_u32_e32 vcc, 0, v1
	s_and_b64 vcc, vcc, exec
	s_or_b64 s[30:31], s[30:31], vcc
	s_mov_b64 vcc, -1
	s_or_b64 s[94:95], s[94:95], exec
	s_and_saveexec_b64 s[34:35], s[30:31]
	s_cbranch_execz .LBB16_527
.LBB16_531:                             ;   in Loop: Header=BB16_528 Depth=4
	s_sleep 1
	s_trap 2
	ds_read_b64 v[1:2], v0
	s_waitcnt lgkmcnt(0)
	s_andn2_b64 s[94:95], s[94:95], exec
	v_cmp_ge_u64_e32 vcc, v[1:2], v[28:29]
	s_orn2_b64 vcc, vcc, exec
	s_branch .LBB16_527
.LBB16_532:                             ;   in Loop: Header=BB16_473 Depth=3
	s_or_b64 exec, exec, s[90:91]
	s_and_saveexec_b64 s[90:91], s[92:93]
	s_xor_b64 s[90:91], exec, s[90:91]
	s_cbranch_execz .LBB16_534
; %bb.533:                              ;   in Loop: Header=BB16_473 Depth=3
	ds_write_b32 v0, v13
	s_trap 2
.LBB16_534:                             ;   in Loop: Header=BB16_473 Depth=3
	s_or_b64 exec, exec, s[88:89]
	;;#ASMSTART
	s_wakeup
	;;#ASMEND
.LBB16_535:                             ;   in Loop: Header=BB16_473 Depth=3
	s_or_b64 exec, exec, s[42:43]
.LBB16_536:                             ;   in Loop: Header=BB16_473 Depth=3
	s_andn2_saveexec_b64 s[40:41], s[40:41]
	s_cbranch_execz .LBB16_538
; %bb.537:                              ;   in Loop: Header=BB16_473 Depth=3
	s_waitcnt vmcnt(0) lgkmcnt(0)
	buffer_wbinvl1_vol
	s_barrier
.LBB16_538:                             ;   in Loop: Header=BB16_473 Depth=3
	s_or_b64 exec, exec, s[40:41]
.LBB16_539:                             ;   in Loop: Header=BB16_473 Depth=3
	s_or_b64 exec, exec, s[28:29]
	s_trap 2
	s_waitcnt lgkmcnt(0)
	ds_read_b64 v[40:41], v0
	s_waitcnt lgkmcnt(0)
	v_cmp_eq_u64_e32 vcc, 0, v[40:41]
	s_cbranch_vccnz .LBB16_548
; %bb.540:                              ;   in Loop: Header=BB16_473 Depth=3
	s_trap 2
	ds_read_b64 v[42:43], v0
	s_waitcnt lgkmcnt(0)
	v_cmp_eq_u64_e32 vcc, 0, v[42:43]
	s_cbranch_vccnz .LBB16_548
; %bb.541:                              ;   in Loop: Header=BB16_473 Depth=3
	buffer_store_dword v48, off, s[0:3], s33 offset:60 ; 4-byte Folded Spill
	s_nop 0
	buffer_store_dword v49, off, s[0:3], s33 offset:64 ; 4-byte Folded Spill
	s_trap 2
	ds_read_b64 v[44:45], v0
	v_cmp_eq_u32_e64 s[28:29], 0, v0
	v_cndmask_b32_e64 v34, 0, v52, s[28:29]
	s_waitcnt lgkmcnt(0)
	v_cmp_ne_u64_e32 vcc, 0, v[44:45]
	s_cbranch_vccz .LBB16_553
; %bb.542:                              ;   in Loop: Header=BB16_473 Depth=3
	s_mov_b64 s[40:41], -1
	s_and_saveexec_b64 s[28:29], s[24:25]
	s_cbranch_execz .LBB16_544
; %bb.543:                              ;   in Loop: Header=BB16_473 Depth=3
	ds_read_b32 v0, v0 offset:720
	s_waitcnt lgkmcnt(0)
	v_and_b32_e32 v0, 15, v0
	v_cmp_eq_u32_e32 vcc, 0, v0
	s_orn2_b64 s[40:41], vcc, exec
.LBB16_544:                             ;   in Loop: Header=BB16_473 Depth=3
	s_or_b64 exec, exec, s[28:29]
	s_and_saveexec_b64 s[28:29], s[16:17]
	s_cbranch_execz .LBB16_546
; %bb.545:                              ;   in Loop: Header=BB16_473 Depth=3
	ds_read_b32 v0, v0 offset:784
	s_waitcnt lgkmcnt(0)
	v_and_b32_e32 v0, 15, v0
	v_cmp_eq_u32_e32 vcc, 0, v0
	s_and_b64 s[42:43], s[40:41], vcc
	s_andn2_b64 s[40:41], s[40:41], exec
	s_and_b64 s[42:43], s[42:43], exec
	s_or_b64 s[40:41], s[40:41], s[42:43]
.LBB16_546:                             ;   in Loop: Header=BB16_473 Depth=3
	s_or_b64 exec, exec, s[28:29]
	s_xor_b64 s[40:41], s[40:41], -1
	v_cndmask_b32_e64 v0, 0, 1, s[40:41]
	s_mov_b64 s[28:29], -1
	v_mov_b32_e32 v53, 0
	v_cmp_ne_u32_e32 vcc, 0, v0
	v_mov_b32_e32 v46, v34
	v_mov_b32_e32 v47, v11
	v_mov_b32_e32 v2, v38
	s_cbranch_vccz .LBB16_555
; %bb.547:                              ;   in Loop: Header=BB16_473 Depth=3
	s_and_saveexec_b64 s[42:43], s[28:29]
	s_cbranch_execnz .LBB16_570
	s_branch .LBB16_580
.LBB16_548:                             ;   in Loop: Header=BB16_473 Depth=3
	s_mov_b64 s[28:29], 0
	s_and_saveexec_b64 s[40:41], s[12:13]
	s_cbranch_execnz .LBB16_609
.LBB16_549:                             ;   in Loop: Header=BB16_473 Depth=3
	s_or_b64 exec, exec, s[40:41]
                                        ; implicit-def: $vgpr0
	s_and_saveexec_b64 s[40:41], s[18:19]
	s_xor_b64 s[40:41], exec, s[40:41]
	s_cbranch_execz .LBB16_627
.LBB16_550:                             ;   in Loop: Header=BB16_473 Depth=3
	v_and_b32_e32 v1, 16, v56
	v_cmp_ne_u32_e32 vcc, 0, v1
	v_and_b32_e32 v0, 16, v56
	s_and_b64 s[42:43], vcc, s[28:29]
	s_and_saveexec_b64 s[28:29], s[42:43]
	s_cbranch_execz .LBB16_552
; %bb.551:                              ;   in Loop: Header=BB16_473 Depth=3
	v_mov_b32_e32 v0, 1
	s_waitcnt vmcnt(0) lgkmcnt(0)
	buffer_wbinvl1_vol
.LBB16_552:                             ;   in Loop: Header=BB16_473 Depth=3
	s_or_b64 exec, exec, s[28:29]
	s_andn2_saveexec_b64 s[28:29], s[40:41]
	s_cbranch_execz .LBB16_646
	s_branch .LBB16_628
.LBB16_553:                             ;   in Loop: Header=BB16_473 Depth=3
	buffer_load_dword v48, off, s[0:3], s33 offset:60 ; 4-byte Folded Reload
	buffer_load_dword v49, off, s[0:3], s33 offset:64 ; 4-byte Folded Reload
	s_cbranch_execnz .LBB16_581
.LBB16_554:                             ;   in Loop: Header=BB16_473 Depth=3
	v_cmp_lt_i32_e64 s[28:29], 0, v34
	s_and_saveexec_b64 s[40:41], s[12:13]
	s_cbranch_execnz .LBB16_609
	s_branch .LBB16_549
.LBB16_555:                             ;   in Loop: Header=BB16_473 Depth=3
	v_ashrrev_i32_e32 v0, 31, v34
	v_lshrrev_b32_e32 v0, 20, v0
	v_add_u32_e32 v0, v34, v0
	v_ashrrev_i32_e32 v0, 12, v0
	v_sub_u32_e32 v1, v0, v38
	v_cmp_lt_i32_e32 vcc, 0, v1
	s_and_saveexec_b64 s[28:29], vcc
	s_cbranch_execz .LBB16_559
; %bb.556:                              ;   in Loop: Header=BB16_473 Depth=3
	buffer_load_dword v6, off, s[0:3], s33 offset:192 ; 4-byte Folded Reload
	buffer_load_dword v7, off, s[0:3], s33 offset:196 ; 4-byte Folded Reload
	v_mov_b32_e32 v23, v11
	s_mov_b64 s[40:41], 0
	s_waitcnt vmcnt(0)
	v_add_co_u32_e32 v2, vcc, v40, v6
	v_addc_co_u32_e32 v3, vcc, v41, v7, vcc
	v_add_co_u32_e32 v4, vcc, v42, v6
	v_addc_co_u32_e32 v5, vcc, v43, v7, vcc
	;; [unrolled: 2-line block ×3, first 2 shown]
.LBB16_557:                             ;   Parent Loop BB16_73 Depth=1
                                        ;     Parent Loop BB16_470 Depth=2
                                        ;       Parent Loop BB16_473 Depth=3
                                        ; =>      This Inner Loop Header: Depth=4
	global_load_dwordx4 v[6:9], v[2:3], off glc slc
	global_load_dwordx4 v[10:13], v[2:3], off offset:1024 glc slc
	global_load_dwordx4 v[14:17], v[2:3], off offset:2048 glc slc
	;; [unrolled: 1-line block ×3, first 2 shown]
	v_add_co_u32_e32 v2, vcc, v2, v35
	v_addc_co_u32_e32 v3, vcc, 0, v3, vcc
	v_sub_u32_e32 v1, v1, v62
	v_cmp_gt_i32_e32 vcc, 1, v1
	s_or_b64 s[40:41], vcc, s[40:41]
	s_waitcnt vmcnt(3)
	global_store_dwordx4 v[4:5], v[6:9], off glc slc
	s_waitcnt vmcnt(3)
	global_store_dwordx4 v[4:5], v[10:13], off offset:1024 glc slc
	s_waitcnt vmcnt(3)
	global_store_dwordx4 v[4:5], v[14:17], off offset:2048 glc slc
	;; [unrolled: 2-line block ×3, first 2 shown]
	global_store_dwordx4 v[46:47], v[6:9], off glc slc
	global_store_dwordx4 v[46:47], v[10:13], off offset:1024 glc slc
	global_store_dwordx4 v[46:47], v[14:17], off offset:2048 glc slc
	;; [unrolled: 1-line block ×3, first 2 shown]
	v_add_co_u32_e32 v4, vcc, v4, v35
	v_addc_co_u32_e32 v5, vcc, 0, v5, vcc
	v_add_co_u32_e32 v46, vcc, v46, v35
	v_addc_co_u32_e32 v47, vcc, 0, v47, vcc
	s_andn2_b64 exec, exec, s[40:41]
	s_cbranch_execnz .LBB16_557
; %bb.558:                              ;   in Loop: Header=BB16_473 Depth=3
	s_or_b64 exec, exec, s[40:41]
	buffer_load_dword v22, off, s[0:3], s33 offset:96 ; 4-byte Folded Reload
	buffer_load_dword v16, off, s[0:3], s33 offset:92 ; 4-byte Folded Reload
	;; [unrolled: 1-line block ×8, first 2 shown]
	v_mov_b32_e32 v13, 1
	v_mov_b32_e32 v11, v23
.LBB16_559:                             ;   in Loop: Header=BB16_473 Depth=3
	s_or_b64 exec, exec, s[28:29]
	v_lshlrev_b32_e32 v0, 12, v0
	v_cmp_ne_u32_e32 vcc, v34, v0
	s_mov_b64 s[28:29], 0
	v_mov_b32_e32 v53, 0
                                        ; implicit-def: $vgpr46
                                        ; implicit-def: $vgpr47
                                        ; implicit-def: $vgpr2
	s_and_saveexec_b64 s[88:89], vcc
	s_cbranch_execz .LBB16_569
; %bb.560:                              ;   in Loop: Header=BB16_473 Depth=3
	buffer_load_dword v2, off, s[0:3], s33 offset:168 ; 4-byte Folded Reload
	v_lshlrev_b32_e32 v1, 6, v1
	v_sub_u32_e32 v3, v34, v0
	v_ashrrev_i32_e32 v5, 31, v3
	v_lshrrev_b32_e32 v5, 22, v5
	v_add_u32_e32 v5, v3, v5
	v_and_b32_e32 v6, 0xfffffc00, v5
	v_sub_u32_e32 v8, v3, v6
	v_ashrrev_i32_e32 v7, 10, v5
	v_cmp_lt_i32_e64 s[28:29], 15, v8
	s_waitcnt vmcnt(0)
	v_sub_u32_e32 v1, v2, v1
	v_ashrrev_i32_e32 v2, 31, v1
	v_lshrrev_b32_e32 v2, 26, v2
	v_add_u32_e32 v2, v1, v2
	v_ashrrev_i32_e32 v4, 6, v2
	v_and_b32_e32 v2, 0xffffffc0, v2
	v_sub_u32_e32 v1, v1, v2
	v_lshlrev_b32_e32 v2, 4, v1
	v_lshl_add_u32 v2, v4, 10, v2
	v_sub_u32_e32 v9, v3, v2
	v_addc_co_u32_e64 v3, vcc, 0, v7, s[28:29]
	v_sub_u32_e32 v7, v3, v4
	v_cmp_lt_i32_e32 vcc, 15, v9
	s_and_saveexec_b64 s[90:91], vcc
	s_cbranch_execz .LBB16_566
; %bb.561:                              ;   in Loop: Header=BB16_473 Depth=3
	v_add_u32_e32 v2, v2, v0
	v_ashrrev_i32_e32 v3, 31, v2
	v_add_co_u32_e32 v46, vcc, v2, v40
	v_addc_co_u32_e32 v47, vcc, v3, v41, vcc
	v_add_co_u32_e32 v10, vcc, v2, v42
	v_mov_b32_e32 v17, v11
	v_addc_co_u32_e32 v11, vcc, v3, v43, vcc
	v_add_co_u32_e32 v12, vcc, v2, v44
	v_addc_co_u32_e32 v13, vcc, v3, v45, vcc
	s_mov_b64 s[92:93], 0
.LBB16_562:                             ;   Parent Loop BB16_73 Depth=1
                                        ;     Parent Loop BB16_470 Depth=2
                                        ;       Parent Loop BB16_473 Depth=3
                                        ; =>      This Loop Header: Depth=4
                                        ;           Child Loop BB16_563 Depth 5
	global_load_dwordx4 v[2:5], v[46:47], off glc slc
	s_mov_b64 s[94:95], -1
	s_mov_b64 s[30:31], 0
	s_waitcnt vmcnt(0)
.LBB16_563:                             ;   Parent Loop BB16_73 Depth=1
                                        ;     Parent Loop BB16_470 Depth=2
                                        ;       Parent Loop BB16_473 Depth=3
                                        ;         Parent Loop BB16_562 Depth=4
                                        ; =>        This Inner Loop Header: Depth=5
	s_cmp_eq_u32 s30, 1
	s_cselect_b64 s[40:41], -1, 0
	v_cndmask_b32_e64 v15, v11, v13, s[40:41]
	v_cndmask_b32_e64 v14, v10, v12, s[40:41]
	global_store_dwordx4 v[14:15], v[2:5], off glc slc
	v_add_co_u32_e32 v14, vcc, 0x400, v14
	s_cmp_eq_u32 s30, 0
	v_addc_co_u32_e32 v15, vcc, 0, v15, vcc
	s_cselect_b64 vcc, -1, 0
	s_and_b64 s[42:43], exec, s[94:95]
	s_mov_b64 s[30:31], 1
	v_cndmask_b32_e64 v12, v12, v14, s[40:41]
	s_mov_b64 s[94:95], 0
	v_cndmask_b32_e64 v13, v13, v15, s[40:41]
	v_cndmask_b32_e32 v11, v11, v15, vcc
	v_cndmask_b32_e32 v10, v10, v14, vcc
	s_mov_b64 vcc, s[42:43]
	s_cbranch_vccnz .LBB16_563
; %bb.564:                              ;   in Loop: Header=BB16_562 Depth=4
	v_add_co_u32_e32 v10, vcc, v10, v37
	v_addc_co_u32_e32 v11, vcc, v11, v51, vcc
	v_add_co_u32_e32 v12, vcc, v12, v37
	v_addc_co_u32_e32 v13, vcc, v13, v51, vcc
	v_add_co_u32_e32 v46, vcc, v22, v46
	v_addc_co_u32_e32 v47, vcc, v16, v47, vcc
	v_sub_u32_e32 v9, v9, v36
	v_cmp_gt_i32_e32 vcc, 16, v9
	s_or_b64 s[92:93], vcc, s[92:93]
	v_sub_u32_e32 v7, v7, v62
	s_andn2_b64 exec, exec, s[92:93]
	s_cbranch_execnz .LBB16_562
; %bb.565:                              ;   in Loop: Header=BB16_473 Depth=3
	s_or_b64 exec, exec, s[92:93]
	buffer_load_dword v15, off, s[0:3], s33 offset:84 ; 4-byte Folded Reload
	buffer_load_dword v14, off, s[0:3], s33 offset:80 ; 4-byte Folded Reload
	;; [unrolled: 1-line block ×4, first 2 shown]
	v_mov_b32_e32 v13, 1
	v_mov_b32_e32 v11, v17
.LBB16_566:                             ;   in Loop: Header=BB16_473 Depth=3
	s_or_b64 exec, exec, s[90:91]
	v_and_b32_e32 v3, 15, v34
	v_cndmask_b32_e64 v46, v8, v3, s[28:29]
	v_mov_b32_e32 v53, 0
	v_cmp_ne_u32_e32 vcc, 0, v46
	s_mov_b64 s[42:43], 0
                                        ; implicit-def: $vgpr47
                                        ; implicit-def: $vgpr2
	s_and_saveexec_b64 s[40:41], vcc
	s_cbranch_execz .LBB16_568
; %bb.567:                              ;   in Loop: Header=BB16_473 Depth=3
	v_sub_u32_e32 v2, v8, v3
	v_cndmask_b32_e64 v2, 0, v2, s[28:29]
	v_cmp_lt_i32_e32 vcc, 0, v7
	v_add3_u32 v53, v6, v0, v2
	v_cndmask_b32_e32 v0, 0, v62, vcc
	v_sub_u32_e32 v0, v0, v7
	v_lshl_add_u32 v47, v0, 6, v1
	v_ashrrev_i32_e32 v0, 31, v47
	v_lshrrev_b32_e32 v0, 26, v0
	v_add_u32_e32 v0, v47, v0
	v_ashrrev_i32_e32 v2, 6, v0
	s_mov_b64 s[42:43], exec
.LBB16_568:                             ;   in Loop: Header=BB16_473 Depth=3
	s_or_b64 exec, exec, s[40:41]
	s_and_b64 s[28:29], s[42:43], exec
.LBB16_569:                             ;   in Loop: Header=BB16_473 Depth=3
	s_or_b64 exec, exec, s[88:89]
	s_and_saveexec_b64 s[42:43], s[28:29]
	s_cbranch_execz .LBB16_580
.LBB16_570:                             ;   in Loop: Header=BB16_473 Depth=3
	v_ashrrev_i32_e32 v0, 31, v46
	v_lshrrev_b32_e32 v0, 21, v0
	v_add_u32_e32 v0, v46, v0
	v_ashrrev_i32_e32 v50, 11, v0
	v_sub_u32_e32 v21, v50, v2
	v_ashrrev_i32_e32 v0, 31, v47
	v_cmp_lt_i32_e32 vcc, 0, v21
	v_lshrrev_b32_e32 v1, 26, v0
	s_and_saveexec_b64 s[28:29], vcc
	s_cbranch_execz .LBB16_574
; %bb.571:                              ;   in Loop: Header=BB16_473 Depth=3
	buffer_store_dword v28, off, s[0:3], s33 offset:148 ; 4-byte Folded Spill
	s_nop 0
	buffer_store_dword v29, off, s[0:3], s33 offset:152 ; 4-byte Folded Spill
	buffer_load_dword v39, off, s[0:3], s33 offset:144 ; 4-byte Folded Reload
	v_add_u32_e32 v0, v47, v1
	v_and_b32_e32 v0, 0xffffffc0, v0
	v_mov_b32_e32 v48, v1
	v_sub_u32_e32 v0, v47, v0
	v_lshlrev_b32_e32 v1, 11, v2
	v_add3_u32 v0, v53, v0, v1
	v_ashrrev_i32_e32 v1, 31, v0
	v_add_co_u32_e32 v2, vcc, v0, v42
	v_addc_co_u32_e32 v3, vcc, v1, v43, vcc
	v_add_co_u32_e32 v4, vcc, v0, v44
	v_addc_co_u32_e32 v5, vcc, v1, v45, vcc
	;; [unrolled: 2-line block ×4, first 2 shown]
	s_mov_b64 s[40:41], 0
.LBB16_572:                             ;   Parent Loop BB16_73 Depth=1
                                        ;     Parent Loop BB16_470 Depth=2
                                        ;       Parent Loop BB16_473 Depth=3
                                        ; =>      This Inner Loop Header: Depth=4
	v_add_co_u32_e32 v0, vcc, 0xfffff840, v44
	v_addc_co_u32_e32 v1, vcc, -1, v45, vcc
	flat_load_ubyte v51, v[0:1] glc slc
	v_add_co_u32_e32 v0, vcc, 0xfffff880, v44
	v_addc_co_u32_e32 v1, vcc, -1, v45, vcc
	flat_load_ubyte v61, v[0:1] glc slc
	;; [unrolled: 3-line block ×3, first 2 shown]
	v_add_co_u32_e32 v0, vcc, 0xfffff900, v44
	v_addc_co_u32_e32 v1, vcc, -1, v45, vcc
	v_add_co_u32_e32 v6, vcc, 0xfffff940, v44
	v_addc_co_u32_e32 v7, vcc, -1, v45, vcc
	flat_load_ubyte v38, v[6:7] glc slc
	v_add_co_u32_e32 v6, vcc, 0xfffff980, v44
	v_addc_co_u32_e32 v7, vcc, -1, v45, vcc
	s_waitcnt vmcnt(0)
	flat_load_ubyte v22, v[6:7] glc slc
	v_add_co_u32_e32 v6, vcc, 0xfffff9c0, v44
	v_addc_co_u32_e32 v7, vcc, -1, v45, vcc
	flat_load_ubyte v16, v[6:7] glc slc
	v_add_co_u32_e32 v6, vcc, 0xfffffa00, v44
	v_addc_co_u32_e32 v7, vcc, -1, v45, vcc
	;; [unrolled: 3-line block ×14, first 2 shown]
	v_add_co_u32_e32 v10, vcc, 0xfffffd40, v44
	v_addc_co_u32_e32 v11, vcc, -1, v45, vcc
	flat_load_ubyte v58, v[10:11] glc slc
	v_add_co_u32_e32 v10, vcc, 0xfffffd80, v44
	v_addc_co_u32_e32 v11, vcc, -1, v45, vcc
	flat_load_ubyte v31, v[10:11] glc slc
	v_add_co_u32_e32 v10, vcc, 0xfffffdc0, v44
	v_addc_co_u32_e32 v11, vcc, -1, v45, vcc
	flat_load_ubyte v0, v[0:1] glc slc
	v_sub_u32_e32 v21, v21, v62
	flat_load_ubyte v1, v[10:11] glc slc
	v_add_co_u32_e32 v10, vcc, 0xfffffe00, v44
	v_addc_co_u32_e32 v11, vcc, -1, v45, vcc
	v_add_co_u32_e32 v14, vcc, 0xfffffe40, v44
	v_addc_co_u32_e32 v15, vcc, -1, v45, vcc
	flat_load_ubyte v10, v[10:11] glc slc
	s_nop 0
	flat_load_ubyte v11, v[14:15] glc slc
	v_add_co_u32_e32 v14, vcc, 0xfffffe80, v44
	v_addc_co_u32_e32 v15, vcc, -1, v45, vcc
	flat_load_ubyte v26, v[14:15] glc slc
	v_add_co_u32_e32 v14, vcc, 0xfffffec0, v44
	v_addc_co_u32_e32 v15, vcc, -1, v45, vcc
	;; [unrolled: 3-line block ×6, first 2 shown]
	flat_load_ubyte v7, v[6:7] glc slc
	s_nop 0
	flat_load_ubyte v6, v[14:15] glc slc
	s_nop 0
	flat_load_ubyte v14, v[44:45] glc slc
	s_waitcnt lgkmcnt(0)
	flat_store_byte v[2:3], v51 glc slc
	flat_store_byte v[2:3], v61 offset:64 glc slc
	flat_store_byte v[2:3], v17 offset:128 glc slc
	s_waitcnt vmcnt(0)
	flat_store_byte v[2:3], v0 offset:192 glc slc
	flat_store_byte v[2:3], v38 offset:256 glc slc
	;; [unrolled: 1-line block ×29, first 2 shown]
	flat_store_byte v[4:5], v51 glc slc
	flat_store_byte v[4:5], v61 offset:64 glc slc
	flat_store_byte v[4:5], v17 offset:128 glc slc
	;; [unrolled: 1-line block ×31, first 2 shown]
	v_add_co_u32_e32 v2, vcc, v2, v39
	v_addc_co_u32_e32 v3, vcc, 0, v3, vcc
	v_add_co_u32_e32 v4, vcc, v4, v39
	v_addc_co_u32_e32 v5, vcc, 0, v5, vcc
	;; [unrolled: 2-line block ×3, first 2 shown]
	v_cmp_gt_i32_e32 vcc, 1, v21
	s_or_b64 s[40:41], vcc, s[40:41]
	s_andn2_b64 exec, exec, s[40:41]
	s_cbranch_execnz .LBB16_572
; %bb.573:                              ;   in Loop: Header=BB16_473 Depth=3
	s_or_b64 exec, exec, s[40:41]
	buffer_load_dword v11, off, s[0:3], s33 offset:156 ; 4-byte Folded Reload
	buffer_load_dword v26, off, s[0:3], s33 offset:108 ; 4-byte Folded Reload
	;; [unrolled: 1-line block ×23, first 2 shown]
	v_lshlrev_b32_e32 v35, 12, v62
	v_lshlrev_b32_e32 v36, 10, v62
	v_mov_b32_e32 v13, 1
	v_mov_b32_e32 v1, v48
.LBB16_574:                             ;   in Loop: Header=BB16_473 Depth=3
	s_or_b64 exec, exec, s[28:29]
	v_lshlrev_b32_e32 v0, 11, v50
	v_cmp_ne_u32_e32 vcc, v46, v0
	s_and_b64 s[28:29], exec, vcc
	v_mov_b32_e32 v39, 0xd0
	v_mov_b32_e32 v50, 0x88
	s_mov_b64 exec, s[28:29]
	s_cbranch_execz .LBB16_580
; %bb.575:                              ;   in Loop: Header=BB16_473 Depth=3
	v_add_u32_e32 v1, v47, v1
	v_and_b32_e32 v1, 0xffffffc0, v1
	v_sub_u32_e32 v1, v47, v1
	v_lshlrev_b32_e32 v2, 6, v21
	v_sub_u32_e32 v1, v1, v2
	v_add_u32_e32 v1, v0, v1
	v_sub_u32_e32 v0, v46, v1
	v_cmp_lt_i32_e32 vcc, 0, v0
	s_and_b64 exec, exec, vcc
	s_cbranch_execz .LBB16_580
; %bb.576:                              ;   in Loop: Header=BB16_473 Depth=3
	s_trap 2
	ds_read_b64 v[2:3], v0
	ds_read_b128 v[4:7], v0
	v_add_u32_e32 v8, v1, v53
	v_ashrrev_i32_e32 v9, 31, v8
	s_mov_b64 s[88:89], 0
	s_waitcnt lgkmcnt(0)
	v_add_co_u32_e32 v2, vcc, v2, v8
	v_addc_co_u32_e32 v3, vcc, v3, v9, vcc
	v_add_co_u32_e32 v1, vcc, v4, v8
	v_addc_co_u32_e32 v4, vcc, v5, v9, vcc
	v_add_co_u32_e32 v5, vcc, v6, v8
	v_addc_co_u32_e32 v6, vcc, v7, v9, vcc
.LBB16_577:                             ;   Parent Loop BB16_73 Depth=1
                                        ;     Parent Loop BB16_470 Depth=2
                                        ;       Parent Loop BB16_473 Depth=3
                                        ; =>      This Loop Header: Depth=4
                                        ;           Child Loop BB16_578 Depth 5
	flat_load_ubyte v7, v[2:3] glc slc
	s_mov_b64 s[90:91], -1
	s_mov_b64 s[92:93], 0
	s_waitcnt vmcnt(0)
.LBB16_578:                             ;   Parent Loop BB16_73 Depth=1
                                        ;     Parent Loop BB16_470 Depth=2
                                        ;       Parent Loop BB16_473 Depth=3
                                        ;         Parent Loop BB16_577 Depth=4
                                        ; =>        This Inner Loop Header: Depth=5
	s_cmp_eq_u32 s92, 1
	s_cselect_b64 vcc, -1, 0
	v_cndmask_b32_e32 v9, v4, v6, vcc
	v_cndmask_b32_e32 v8, v1, v5, vcc
	s_waitcnt lgkmcnt(0)
	flat_store_byte v[8:9], v7 glc slc
	v_add_co_u32_e64 v8, s[28:29], 64, v8
	s_cmp_eq_u32 s92, 0
	v_addc_co_u32_e64 v9, s[28:29], 0, v9, s[28:29]
	s_cselect_b64 s[28:29], -1, 0
	s_and_b64 s[40:41], exec, s[90:91]
	s_mov_b64 s[92:93], 1
	s_mov_b64 s[90:91], 0
	v_cndmask_b32_e32 v6, v6, v9, vcc
	v_cndmask_b32_e32 v5, v5, v8, vcc
	v_cndmask_b32_e64 v4, v4, v9, s[28:29]
	v_cndmask_b32_e64 v1, v1, v8, s[28:29]
	s_mov_b64 vcc, s[40:41]
	s_cbranch_vccnz .LBB16_578
; %bb.579:                              ;   in Loop: Header=BB16_577 Depth=4
	v_add_co_u32_e32 v1, vcc, v1, v20
	v_addc_co_u32_e32 v4, vcc, v4, v15, vcc
	v_add_co_u32_e32 v5, vcc, v5, v20
	v_addc_co_u32_e32 v6, vcc, v6, v15, vcc
	v_sub_u32_e32 v0, v0, v19
	v_cmp_gt_i32_e32 vcc, 1, v0
	s_or_b64 s[88:89], vcc, s[88:89]
	v_add_co_u32_e32 v2, vcc, v14, v2
	v_addc_co_u32_e32 v3, vcc, v12, v3, vcc
	s_andn2_b64 exec, exec, s[88:89]
	s_cbranch_execnz .LBB16_577
.LBB16_580:                             ;   in Loop: Header=BB16_473 Depth=3
	s_or_b64 exec, exec, s[42:43]
	buffer_load_dword v48, off, s[0:3], s33 offset:60 ; 4-byte Folded Reload
	buffer_load_dword v49, off, s[0:3], s33 offset:64 ; 4-byte Folded Reload
	s_branch .LBB16_554
.LBB16_581:                             ;   in Loop: Header=BB16_473 Depth=3
	s_mov_b64 s[28:29], -1
	s_and_saveexec_b64 s[40:41], s[24:25]
	s_cbranch_execz .LBB16_583
; %bb.582:                              ;   in Loop: Header=BB16_473 Depth=3
	ds_read_b32 v0, v0 offset:720
	s_waitcnt lgkmcnt(0)
	v_and_b32_e32 v0, 15, v0
	v_cmp_eq_u32_e32 vcc, 0, v0
	s_orn2_b64 s[28:29], vcc, exec
.LBB16_583:                             ;   in Loop: Header=BB16_473 Depth=3
	s_or_b64 exec, exec, s[40:41]
	s_and_saveexec_b64 s[40:41], s[14:15]
	s_cbranch_execz .LBB16_585
; %bb.584:                              ;   in Loop: Header=BB16_473 Depth=3
	ds_read_b32 v0, v0 offset:784
	s_waitcnt lgkmcnt(0)
	v_and_b32_e32 v0, 15, v0
	v_cmp_eq_u32_e32 vcc, 0, v0
	s_and_b64 s[42:43], s[28:29], vcc
	s_andn2_b64 s[28:29], s[28:29], exec
	s_and_b64 s[42:43], s[42:43], exec
	s_or_b64 s[28:29], s[28:29], s[42:43]
.LBB16_585:                             ;   in Loop: Header=BB16_473 Depth=3
	s_or_b64 exec, exec, s[40:41]
	s_xor_b64 s[28:29], s[28:29], -1
	v_cndmask_b32_e64 v1, 0, 1, s[28:29]
	s_mov_b64 s[42:43], -1
	v_mov_b32_e32 v0, 0
	v_cmp_ne_u32_e32 vcc, 0, v1
	v_mov_b32_e32 v1, v34
	s_waitcnt vmcnt(0)
	v_mov_b32_e32 v2, v11
	v_mov_b32_e32 v5, v38
	s_cbranch_vccz .LBB16_587
; %bb.586:                              ;   in Loop: Header=BB16_473 Depth=3
	s_and_saveexec_b64 s[28:29], s[42:43]
	s_cbranch_execnz .LBB16_600
	s_branch .LBB16_608
.LBB16_587:                             ;   in Loop: Header=BB16_473 Depth=3
	v_ashrrev_i32_e32 v0, 31, v34
	v_lshrrev_b32_e32 v0, 19, v0
	v_add_u32_e32 v0, v34, v0
	v_ashrrev_i32_e32 v0, 13, v0
	v_sub_u32_e32 v6, v0, v38
	v_cmp_lt_i32_e32 vcc, 0, v6
	s_and_saveexec_b64 s[40:41], vcc
	s_cbranch_execz .LBB16_591
; %bb.588:                              ;   in Loop: Header=BB16_473 Depth=3
	buffer_load_dword v23, off, s[0:3], s33 offset:172 ; 4-byte Folded Reload
	buffer_load_dword v53, off, s[0:3], s33 offset:176 ; 4-byte Folded Reload
	v_mov_b32_e32 v1, v18
	v_mov_b32_e32 v17, v28
	;; [unrolled: 1-line block ×6, first 2 shown]
	s_mov_b64 s[42:43], 0
	v_mov_b32_e32 v3, v43
	v_mov_b32_e32 v5, v41
	v_lshlrev_b32_e32 v62, 13, v39
.LBB16_589:                             ;   Parent Loop BB16_73 Depth=1
                                        ;     Parent Loop BB16_470 Depth=2
                                        ;       Parent Loop BB16_473 Depth=3
                                        ; =>      This Inner Loop Header: Depth=4
	s_waitcnt vmcnt(0)
	v_add_co_u32_e32 v15, vcc, v23, v4
	v_addc_co_u32_e32 v16, vcc, v53, v5, vcc
	global_load_dwordx4 v[7:10], v[15:16], off glc slc
	global_load_dwordx4 v[11:14], v[15:16], off offset:1024 glc slc
	global_load_dwordx4 v[19:22], v[15:16], off offset:2048 glc slc
	;; [unrolled: 1-line block ×3, first 2 shown]
	v_add_co_u32_e32 v15, vcc, s65, v15
	v_addc_co_u32_e32 v16, vcc, 0, v16, vcc
	global_load_dwordx4 v[35:38], v[15:16], off glc slc
	global_load_dwordx4 v[48:51], v[15:16], off offset:1024 glc slc
	global_load_dwordx4 v[44:47], v[15:16], off offset:2048 glc slc
	;; [unrolled: 1-line block ×3, first 2 shown]
	v_add_co_u32_e32 v15, vcc, v23, v2
	v_addc_co_u32_e32 v16, vcc, v53, v3, vcc
	v_add_co_u32_e32 v4, vcc, v4, v62
	v_addc_co_u32_e32 v5, vcc, 0, v5, vcc
	v_sub_u32_e32 v6, v6, v39
	v_add_co_u32_e32 v2, vcc, v2, v62
	v_addc_co_u32_e32 v3, vcc, 0, v3, vcc
	v_cmp_gt_i32_e64 s[28:29], 1, v6
	v_add_co_u32_e32 v30, vcc, s65, v15
	s_or_b64 s[42:43], s[28:29], s[42:43]
	v_addc_co_u32_e32 v31, vcc, 0, v16, vcc
	s_waitcnt vmcnt(0)
	global_store_dwordx4 v[15:16], v[7:10], off glc slc
	global_store_dwordx4 v[15:16], v[11:14], off offset:1024 glc slc
	global_store_dwordx4 v[15:16], v[19:22], off offset:2048 glc slc
	;; [unrolled: 1-line block ×3, first 2 shown]
	global_store_dwordx4 v[30:31], v[35:38], off glc slc
	global_store_dwordx4 v[30:31], v[48:51], off offset:1024 glc slc
	global_store_dwordx4 v[30:31], v[44:47], off offset:2048 glc slc
	;; [unrolled: 1-line block ×3, first 2 shown]
	s_andn2_b64 exec, exec, s[42:43]
	s_cbranch_execnz .LBB16_589
; %bb.590:                              ;   in Loop: Header=BB16_473 Depth=3
	s_or_b64 exec, exec, s[42:43]
	buffer_load_dword v11, off, s[0:3], s33 offset:156 ; 4-byte Folded Reload
	buffer_load_dword v26, off, s[0:3], s33 offset:108 ; 4-byte Folded Reload
	;; [unrolled: 1-line block ×23, first 2 shown]
	s_waitcnt vmcnt(0)
	v_mov_b32_e32 v29, v18
	v_mov_b32_e32 v28, v17
	;; [unrolled: 1-line block ×3, first 2 shown]
	v_lshlrev_b32_e32 v35, 12, v39
	v_lshlrev_b32_e32 v36, 10, v39
	v_mov_b32_e32 v62, v39
	v_mov_b32_e32 v13, 1
	;; [unrolled: 1-line block ×4, first 2 shown]
.LBB16_591:                             ;   in Loop: Header=BB16_473 Depth=3
	s_or_b64 exec, exec, s[40:41]
	v_lshlrev_b32_e32 v3, 13, v0
	v_cmp_ne_u32_e32 vcc, v34, v3
	s_mov_b64 s[42:43], 0
	v_mov_b32_e32 v0, 0
                                        ; implicit-def: $vgpr1
                                        ; implicit-def: $vgpr2
                                        ; implicit-def: $vgpr5
	s_and_saveexec_b64 s[40:41], vcc
	s_cbranch_execz .LBB16_599
; %bb.592:                              ;   in Loop: Header=BB16_473 Depth=3
	buffer_load_dword v1, off, s[0:3], s33 offset:168 ; 4-byte Folded Reload
	v_lshlrev_b32_e32 v0, 6, v6
	v_sub_u32_e32 v2, v34, v3
	v_ashrrev_i32_e32 v6, 31, v2
	v_lshrrev_b32_e32 v6, 22, v6
	v_add_u32_e32 v6, v2, v6
	v_ashrrev_i32_e32 v7, 10, v6
	v_and_b32_e32 v6, 0xfffffc00, v6
	v_sub_u32_e32 v8, v2, v6
	v_cmp_lt_i32_e32 vcc, 15, v8
	s_waitcnt vmcnt(0)
	v_sub_u32_e32 v0, v1, v0
	v_ashrrev_i32_e32 v1, 31, v0
	v_lshrrev_b32_e32 v1, 26, v1
	v_add_u32_e32 v1, v0, v1
	v_ashrrev_i32_e32 v5, 6, v1
	v_and_b32_e32 v1, 0xffffffc0, v1
	v_sub_u32_e32 v4, v0, v1
	v_lshlrev_b32_e32 v0, 4, v4
	v_lshl_add_u32 v1, v5, 10, v0
	v_sub_u32_e32 v0, v2, v1
	v_addc_co_u32_e64 v2, s[28:29], 0, v7, vcc
	v_sub_u32_e32 v7, v2, v5
	v_cmp_lt_i32_e64 s[28:29], 15, v0
	s_and_saveexec_b64 s[42:43], s[28:29]
	s_cbranch_execz .LBB16_596
; %bb.593:                              ;   in Loop: Header=BB16_473 Depth=3
	v_add_u32_e32 v1, v1, v3
	v_mov_b32_e32 v5, v11
	v_ashrrev_i32_e32 v2, 31, v1
	s_mov_b64 s[88:89], 0
.LBB16_594:                             ;   Parent Loop BB16_73 Depth=1
                                        ;     Parent Loop BB16_470 Depth=2
                                        ;       Parent Loop BB16_473 Depth=3
                                        ; =>      This Inner Loop Header: Depth=4
	v_add_co_u32_e64 v9, s[28:29], v40, v1
	v_addc_co_u32_e64 v10, s[28:29], v41, v2, s[28:29]
	global_load_dwordx4 v[9:12], v[9:10], off glc slc
	v_add_co_u32_e64 v13, s[28:29], v42, v1
	v_addc_co_u32_e64 v14, s[28:29], v43, v2, s[28:29]
	v_add_co_u32_e64 v1, s[28:29], v1, v22
	v_sub_u32_e32 v0, v0, v36
	v_addc_co_u32_e64 v2, s[28:29], v2, v16, s[28:29]
	v_cmp_gt_i32_e64 s[28:29], 16, v0
	v_sub_u32_e32 v7, v7, v62
	s_or_b64 s[88:89], s[28:29], s[88:89]
	s_waitcnt vmcnt(0)
	global_store_dwordx4 v[13:14], v[9:12], off glc slc
	s_andn2_b64 exec, exec, s[88:89]
	s_cbranch_execnz .LBB16_594
; %bb.595:                              ;   in Loop: Header=BB16_473 Depth=3
	s_or_b64 exec, exec, s[88:89]
	buffer_load_dword v14, off, s[0:3], s33 offset:80 ; 4-byte Folded Reload
	buffer_load_dword v12, off, s[0:3], s33 offset:76 ; 4-byte Folded Reload
	;; [unrolled: 1-line block ×3, first 2 shown]
	v_mov_b32_e32 v13, 1
	v_mov_b32_e32 v11, v5
.LBB16_596:                             ;   in Loop: Header=BB16_473 Depth=3
	s_or_b64 exec, exec, s[42:43]
	v_and_b32_e32 v9, 15, v34
	v_cndmask_b32_e32 v1, v8, v9, vcc
	v_mov_b32_e32 v0, 0
	v_cmp_ne_u32_e64 s[28:29], 0, v1
	s_mov_b64 s[88:89], 0
                                        ; implicit-def: $vgpr2
                                        ; implicit-def: $vgpr5
	s_and_saveexec_b64 s[42:43], s[28:29]
	s_cbranch_execz .LBB16_598
; %bb.597:                              ;   in Loop: Header=BB16_473 Depth=3
	v_sub_u32_e32 v0, v8, v9
	v_cndmask_b32_e32 v0, 0, v0, vcc
	v_cmp_lt_i32_e32 vcc, 0, v7
	v_cndmask_b32_e32 v2, 0, v62, vcc
	v_sub_u32_e32 v2, v2, v7
	v_lshl_add_u32 v2, v2, 6, v4
	v_add3_u32 v0, v6, v3, v0
	v_ashrrev_i32_e32 v3, 31, v2
	v_lshrrev_b32_e32 v3, 26, v3
	v_add_u32_e32 v3, v2, v3
	v_ashrrev_i32_e32 v5, 6, v3
	s_mov_b64 s[88:89], exec
.LBB16_598:                             ;   in Loop: Header=BB16_473 Depth=3
	s_or_b64 exec, exec, s[42:43]
	s_and_b64 s[42:43], s[88:89], exec
.LBB16_599:                             ;   in Loop: Header=BB16_473 Depth=3
	s_or_b64 exec, exec, s[40:41]
	s_and_saveexec_b64 s[28:29], s[42:43]
	s_cbranch_execz .LBB16_608
.LBB16_600:                             ;   in Loop: Header=BB16_473 Depth=3
	v_ashrrev_i32_e32 v3, 31, v1
	v_lshrrev_b32_e32 v3, 21, v3
	v_add_u32_e32 v3, v1, v3
	v_ashrrev_i32_e32 v4, 11, v3
	v_sub_u32_e32 v3, v4, v5
	v_cmp_lt_i32_e32 vcc, 0, v3
	s_and_saveexec_b64 s[40:41], vcc
	s_cbranch_execz .LBB16_604
; %bb.601:                              ;   in Loop: Header=BB16_473 Depth=3
	buffer_load_dword v39, off, s[0:3], s33 offset:144 ; 4-byte Folded Reload
	v_ashrrev_i32_e32 v6, 31, v2
	v_lshrrev_b32_e32 v6, 26, v6
	v_add_u32_e32 v6, v2, v6
	v_and_b32_e32 v6, 0xffffffc0, v6
	v_sub_u32_e32 v6, v2, v6
	v_lshlrev_b32_e32 v5, 11, v5
	v_mov_b32_e32 v59, v29
	v_add3_u32 v5, v0, v6, v5
	v_mov_b32_e32 v47, v11
	v_mov_b32_e32 v58, v28
	v_ashrrev_i32_e32 v6, 31, v5
	s_mov_b64 s[42:43], 0
.LBB16_602:                             ;   Parent Loop BB16_73 Depth=1
                                        ;     Parent Loop BB16_470 Depth=2
                                        ;       Parent Loop BB16_473 Depth=3
                                        ; =>      This Inner Loop Header: Depth=4
	v_add_co_u32_e32 v7, vcc, v5, v40
	v_addc_co_u32_e32 v8, vcc, v6, v41, vcc
	flat_load_ubyte v9, v[7:8] glc slc
	s_waitcnt vmcnt(0)
	flat_load_ubyte v10, v[7:8] offset:64 glc slc
	flat_load_ubyte v11, v[7:8] offset:128 glc slc
	;; [unrolled: 1-line block ×31, first 2 shown]
	v_add_co_u32_e32 v7, vcc, v5, v42
	v_addc_co_u32_e32 v8, vcc, v6, v43, vcc
	v_add_co_u32_e32 v40, vcc, v40, v39
	v_addc_co_u32_e32 v41, vcc, 0, v41, vcc
	v_add_co_u32_e32 v42, vcc, v42, v39
	v_sub_u32_e32 v3, v3, v62
	v_addc_co_u32_e32 v43, vcc, 0, v43, vcc
	v_cmp_gt_i32_e32 vcc, 1, v3
	s_or_b64 s[42:43], vcc, s[42:43]
	s_waitcnt lgkmcnt(0)
	flat_store_byte v[7:8], v9 glc slc
	s_waitcnt vmcnt(0)
	flat_store_byte v[7:8], v10 offset:64 glc slc
	flat_store_byte v[7:8], v11 offset:128 glc slc
	;; [unrolled: 1-line block ×31, first 2 shown]
	s_andn2_b64 exec, exec, s[42:43]
	s_cbranch_execnz .LBB16_602
; %bb.603:                              ;   in Loop: Header=BB16_473 Depth=3
	s_or_b64 exec, exec, s[42:43]
	buffer_load_dword v26, off, s[0:3], s33 offset:108 ; 4-byte Folded Reload
	buffer_load_dword v27, off, s[0:3], s33 offset:112 ; 4-byte Folded Reload
	buffer_load_dword v28, off, s[0:3], s33 offset:116 ; 4-byte Folded Reload
	buffer_load_dword v29, off, s[0:3], s33 offset:120 ; 4-byte Folded Reload
	buffer_load_dword v30, off, s[0:3], s33 offset:124 ; 4-byte Folded Reload
	buffer_load_dword v31, off, s[0:3], s33 offset:128 ; 4-byte Folded Reload
	s_waitcnt vmcnt(0)
	v_mov_b32_e32 v28, v58
	v_mov_b32_e32 v29, v59
	buffer_load_dword v58, off, s[0:3], s33 offset:136 ; 4-byte Folded Reload
	buffer_load_dword v38, off, s[0:3], s33 offset:132 ; 4-byte Folded Reload
	buffer_load_dword v37, off, s[0:3], s33 offset:140 ; 4-byte Folded Reload
	buffer_load_dword v51, off, s[0:3], s33 offset:100 ; 4-byte Folded Reload
	buffer_load_dword v22, off, s[0:3], s33 offset:96 ; 4-byte Folded Reload
	buffer_load_dword v16, off, s[0:3], s33 offset:92 ; 4-byte Folded Reload
	buffer_load_dword v19, off, s[0:3], s33 offset:88 ; 4-byte Folded Reload
	buffer_load_dword v20, off, s[0:3], s33 offset:104 ; 4-byte Folded Reload
	buffer_load_dword v15, off, s[0:3], s33 offset:84 ; 4-byte Folded Reload
	buffer_load_dword v14, off, s[0:3], s33 offset:80 ; 4-byte Folded Reload
	buffer_load_dword v12, off, s[0:3], s33 offset:76 ; 4-byte Folded Reload
	buffer_load_dword v48, off, s[0:3], s33 offset:60 ; 4-byte Folded Reload
	buffer_load_dword v49, off, s[0:3], s33 offset:64 ; 4-byte Folded Reload
	buffer_load_dword v10, off, s[0:3], s33 offset:72 ; 4-byte Folded Reload
	v_lshlrev_b32_e32 v35, 12, v62
	v_lshlrev_b32_e32 v36, 10, v62
	v_mov_b32_e32 v13, 1
	v_mov_b32_e32 v39, 0xd0
	;; [unrolled: 1-line block ×4, first 2 shown]
.LBB16_604:                             ;   in Loop: Header=BB16_473 Depth=3
	s_or_b64 exec, exec, s[40:41]
	v_lshlrev_b32_e32 v4, 11, v4
	v_cmp_ne_u32_e32 vcc, v1, v4
	s_and_b64 exec, exec, vcc
	s_cbranch_execz .LBB16_608
; %bb.605:                              ;   in Loop: Header=BB16_473 Depth=3
	v_ashrrev_i32_e32 v5, 31, v2
	v_lshrrev_b32_e32 v5, 26, v5
	v_add_u32_e32 v5, v2, v5
	v_and_b32_e32 v5, 0xffffffc0, v5
	v_sub_u32_e32 v2, v2, v5
	v_lshlrev_b32_e32 v3, 6, v3
	v_sub_u32_e32 v2, v2, v3
	v_add_u32_e32 v2, v4, v2
	v_sub_u32_e32 v1, v1, v2
	v_cmp_lt_i32_e32 vcc, 0, v1
	s_and_b64 exec, exec, vcc
	s_cbranch_execz .LBB16_608
; %bb.606:                              ;   in Loop: Header=BB16_473 Depth=3
	v_add_u32_e32 v0, v2, v0
	s_trap 2
	ds_read_b64 v[2:3], v0
	v_ashrrev_i32_e32 v4, 31, v0
	s_mov_b64 s[40:41], 0
.LBB16_607:                             ;   Parent Loop BB16_73 Depth=1
                                        ;     Parent Loop BB16_470 Depth=2
                                        ;       Parent Loop BB16_473 Depth=3
                                        ; =>      This Inner Loop Header: Depth=4
	s_waitcnt lgkmcnt(0)
	v_add_co_u32_e32 v5, vcc, v2, v0
	v_addc_co_u32_e32 v6, vcc, v3, v4, vcc
	flat_load_ubyte v7, v[5:6] glc slc
	s_waitcnt vmcnt(0)
	v_add_co_u32_e32 v0, vcc, v0, v14
	v_sub_u32_e32 v1, v1, v19
	v_addc_co_u32_e32 v4, vcc, v4, v12, vcc
	v_cmp_gt_i32_e32 vcc, 1, v1
	s_or_b64 s[40:41], vcc, s[40:41]
	s_waitcnt lgkmcnt(0)
	flat_store_byte v[5:6], v7 glc slc
	s_andn2_b64 exec, exec, s[40:41]
	s_cbranch_execnz .LBB16_607
.LBB16_608:                             ;   in Loop: Header=BB16_473 Depth=3
	s_or_b64 exec, exec, s[28:29]
	v_cmp_lt_i32_e64 s[28:29], 0, v34
	s_and_saveexec_b64 s[40:41], s[12:13]
	s_cbranch_execz .LBB16_549
.LBB16_609:                             ;   in Loop: Header=BB16_473 Depth=3
	s_and_saveexec_b64 s[42:43], s[58:59]
	s_xor_b64 s[42:43], exec, s[42:43]
	s_cbranch_execz .LBB16_624
; %bb.610:                              ;   in Loop: Header=BB16_473 Depth=3
	s_and_saveexec_b64 s[88:89], s[6:7]
	s_cbranch_execz .LBB16_623
; %bb.611:                              ;   in Loop: Header=BB16_473 Depth=3
	s_mov_b64 s[92:93], exec
	v_mbcnt_lo_u32_b32 v0, s92, 0
	v_mbcnt_hi_u32_b32 v0, s93, v0
	v_cmp_eq_u32_e32 vcc, 0, v0
	s_waitcnt vmcnt(0) lgkmcnt(0)
	buffer_wbinvl1_vol
	s_and_saveexec_b64 s[90:91], vcc
	s_cbranch_execz .LBB16_613
; %bb.612:                              ;   in Loop: Header=BB16_473 Depth=3
	s_bcnt1_i32_b64 s92, s[92:93]
	v_mov_b32_e32 v17, s92
	ds_add_u64 v0, v[17:18]
	s_trap 2
.LBB16_613:                             ;   in Loop: Header=BB16_473 Depth=3
	s_or_b64 exec, exec, s[90:91]
	s_trap 2
	ds_read_b64 v[0:1], v0
	s_waitcnt lgkmcnt(0)
	v_add_co_u32_e32 v28, vcc, v28, v62
	v_addc_co_u32_e32 v29, vcc, 0, v29, vcc
	v_cmp_lt_u64_e32 vcc, v[0:1], v[28:29]
	s_and_saveexec_b64 s[90:91], vcc
	s_cbranch_execz .LBB16_622
; %bb.614:                              ;   in Loop: Header=BB16_473 Depth=3
	s_mov_b32 s38, 0
	s_mov_b64 s[92:93], 0
                                        ; implicit-def: $sgpr94_sgpr95
                                        ; implicit-def: $sgpr30_sgpr31
	s_branch .LBB16_616
.LBB16_615:                             ;   in Loop: Header=BB16_616 Depth=4
	s_or_b64 exec, exec, s[36:37]
	s_and_b64 vcc, exec, vcc
	s_or_b64 s[92:93], vcc, s[92:93]
	s_andn2_b64 s[94:95], s[94:95], exec
	s_and_b64 vcc, s[30:31], exec
	s_or_b64 s[94:95], s[94:95], vcc
	s_andn2_b64 exec, exec, s[92:93]
	s_cbranch_execz .LBB16_620
.LBB16_616:                             ;   Parent Loop BB16_73 Depth=1
                                        ;     Parent Loop BB16_470 Depth=2
                                        ;       Parent Loop BB16_473 Depth=3
                                        ; =>      This Inner Loop Header: Depth=4
	s_add_i32 s38, s38, 1
	s_cmpk_lg_i32 s38, 0x2710
	s_cselect_b64 s[34:35], -1, 0
	s_and_b64 vcc, exec, s[34:35]
	s_cbranch_vccz .LBB16_618
; %bb.617:                              ;   in Loop: Header=BB16_616 Depth=4
	s_mov_b64 vcc, -1
	s_or_b64 s[30:31], s[30:31], exec
	s_and_saveexec_b64 s[36:37], s[34:35]
	s_cbranch_execz .LBB16_615
	s_branch .LBB16_619
.LBB16_618:                             ;   in Loop: Header=BB16_616 Depth=4
	s_trap 2
	ds_read_b64 v[0:1], v0
	s_andn2_b64 s[34:35], s[34:35], exec
	s_mov_b32 s38, 0
	s_waitcnt lgkmcnt(0)
	flat_load_dword v0, v[0:1] glc
	s_waitcnt vmcnt(0) lgkmcnt(0)
	buffer_wbinvl1_vol
	v_cmp_eq_u32_e32 vcc, 0, v0
	s_and_b64 vcc, vcc, exec
	s_or_b64 s[34:35], s[34:35], vcc
	s_mov_b64 vcc, -1
	s_or_b64 s[30:31], s[30:31], exec
	s_and_saveexec_b64 s[36:37], s[34:35]
	s_cbranch_execz .LBB16_615
.LBB16_619:                             ;   in Loop: Header=BB16_616 Depth=4
	s_sleep 1
	s_trap 2
	ds_read_b64 v[0:1], v0
	s_waitcnt lgkmcnt(0)
	s_andn2_b64 s[30:31], s[30:31], exec
	v_cmp_ge_u64_e32 vcc, v[0:1], v[28:29]
	s_orn2_b64 vcc, vcc, exec
	s_branch .LBB16_615
.LBB16_620:                             ;   in Loop: Header=BB16_473 Depth=3
	s_or_b64 exec, exec, s[92:93]
	s_and_saveexec_b64 s[92:93], s[94:95]
	s_xor_b64 s[92:93], exec, s[92:93]
	s_cbranch_execz .LBB16_622
; %bb.621:                              ;   in Loop: Header=BB16_473 Depth=3
	ds_write_b32 v0, v13
	s_trap 2
.LBB16_622:                             ;   in Loop: Header=BB16_473 Depth=3
	s_or_b64 exec, exec, s[90:91]
	;;#ASMSTART
	s_wakeup
	;;#ASMEND
.LBB16_623:                             ;   in Loop: Header=BB16_473 Depth=3
	s_or_b64 exec, exec, s[88:89]
.LBB16_624:                             ;   in Loop: Header=BB16_473 Depth=3
	s_andn2_saveexec_b64 s[42:43], s[42:43]
	s_cbranch_execz .LBB16_626
; %bb.625:                              ;   in Loop: Header=BB16_473 Depth=3
	s_waitcnt vmcnt(0) lgkmcnt(0)
	buffer_wbinvl1_vol
	s_barrier
.LBB16_626:                             ;   in Loop: Header=BB16_473 Depth=3
	s_or_b64 exec, exec, s[42:43]
	s_or_b64 exec, exec, s[40:41]
                                        ; implicit-def: $vgpr0
	s_and_saveexec_b64 s[40:41], s[18:19]
	s_xor_b64 s[40:41], exec, s[40:41]
	s_cbranch_execnz .LBB16_550
.LBB16_627:                             ;   in Loop: Header=BB16_473 Depth=3
	s_andn2_saveexec_b64 s[28:29], s[40:41]
	s_cbranch_execz .LBB16_646
.LBB16_628:                             ;   in Loop: Header=BB16_473 Depth=3
	s_and_saveexec_b64 s[40:41], s[58:59]
	s_xor_b64 s[40:41], exec, s[40:41]
	s_cbranch_execz .LBB16_643
; %bb.629:                              ;   in Loop: Header=BB16_473 Depth=3
	s_and_saveexec_b64 s[42:43], s[6:7]
	s_cbranch_execz .LBB16_642
; %bb.630:                              ;   in Loop: Header=BB16_473 Depth=3
	s_mov_b64 s[90:91], exec
	v_mbcnt_lo_u32_b32 v0, s90, 0
	v_mbcnt_hi_u32_b32 v0, s91, v0
	v_cmp_eq_u32_e32 vcc, 0, v0
	;;#ASMSTART
	s_waitcnt lgkmcnt(0) vmcnt(0)
	;;#ASMEND
	s_and_saveexec_b64 s[88:89], vcc
	s_cbranch_execz .LBB16_632
; %bb.631:                              ;   in Loop: Header=BB16_473 Depth=3
	s_bcnt1_i32_b64 s90, s[90:91]
	v_mov_b32_e32 v17, s90
	s_waitcnt lgkmcnt(0)
	ds_add_u64 v0, v[17:18]
	s_trap 2
.LBB16_632:                             ;   in Loop: Header=BB16_473 Depth=3
	s_or_b64 exec, exec, s[88:89]
	s_trap 2
	ds_read_b64 v[0:1], v0
	s_waitcnt vmcnt(0) lgkmcnt(0)
	v_add_co_u32_e32 v28, vcc, v28, v62
	v_addc_co_u32_e32 v29, vcc, 0, v29, vcc
	v_cmp_lt_u64_e32 vcc, v[0:1], v[28:29]
	s_and_saveexec_b64 s[88:89], vcc
	s_cbranch_execz .LBB16_641
; %bb.633:                              ;   in Loop: Header=BB16_473 Depth=3
	s_mov_b32 s36, 0
	s_mov_b64 s[90:91], 0
                                        ; implicit-def: $sgpr92_sgpr93
                                        ; implicit-def: $sgpr94_sgpr95
	s_branch .LBB16_635
.LBB16_634:                             ;   in Loop: Header=BB16_635 Depth=4
	s_or_b64 exec, exec, s[34:35]
	s_and_b64 vcc, exec, vcc
	s_or_b64 s[90:91], vcc, s[90:91]
	s_andn2_b64 s[92:93], s[92:93], exec
	s_and_b64 vcc, s[94:95], exec
	s_or_b64 s[92:93], s[92:93], vcc
	s_andn2_b64 exec, exec, s[90:91]
	s_cbranch_execz .LBB16_639
.LBB16_635:                             ;   Parent Loop BB16_73 Depth=1
                                        ;     Parent Loop BB16_470 Depth=2
                                        ;       Parent Loop BB16_473 Depth=3
                                        ; =>      This Inner Loop Header: Depth=4
	s_add_i32 s36, s36, 1
	s_cmpk_lg_i32 s36, 0x2710
	s_cselect_b64 s[30:31], -1, 0
	s_and_b64 vcc, exec, s[30:31]
	s_cbranch_vccz .LBB16_637
; %bb.636:                              ;   in Loop: Header=BB16_635 Depth=4
	s_mov_b64 vcc, -1
	s_or_b64 s[94:95], s[94:95], exec
	s_and_saveexec_b64 s[34:35], s[30:31]
	s_cbranch_execz .LBB16_634
	s_branch .LBB16_638
.LBB16_637:                             ;   in Loop: Header=BB16_635 Depth=4
	s_trap 2
	ds_read_b64 v[0:1], v0
	s_andn2_b64 s[30:31], s[30:31], exec
	s_mov_b32 s36, 0
	s_waitcnt lgkmcnt(0)
	flat_load_dword v0, v[0:1] glc
	s_waitcnt vmcnt(0) lgkmcnt(0)
	buffer_wbinvl1_vol
	v_cmp_eq_u32_e32 vcc, 0, v0
	s_and_b64 vcc, vcc, exec
	s_or_b64 s[30:31], s[30:31], vcc
	s_mov_b64 vcc, -1
	s_or_b64 s[94:95], s[94:95], exec
	s_and_saveexec_b64 s[34:35], s[30:31]
	s_cbranch_execz .LBB16_634
.LBB16_638:                             ;   in Loop: Header=BB16_635 Depth=4
	s_sleep 1
	s_trap 2
	ds_read_b64 v[0:1], v0
	s_waitcnt lgkmcnt(0)
	s_andn2_b64 s[94:95], s[94:95], exec
	v_cmp_ge_u64_e32 vcc, v[0:1], v[28:29]
	s_orn2_b64 vcc, vcc, exec
	s_branch .LBB16_634
.LBB16_639:                             ;   in Loop: Header=BB16_473 Depth=3
	s_or_b64 exec, exec, s[90:91]
	s_and_saveexec_b64 s[90:91], s[92:93]
	s_xor_b64 s[90:91], exec, s[90:91]
	s_cbranch_execz .LBB16_641
; %bb.640:                              ;   in Loop: Header=BB16_473 Depth=3
	ds_write_b32 v0, v13
	s_trap 2
.LBB16_641:                             ;   in Loop: Header=BB16_473 Depth=3
	s_or_b64 exec, exec, s[88:89]
	;;#ASMSTART
	s_wakeup
	;;#ASMEND
.LBB16_642:                             ;   in Loop: Header=BB16_473 Depth=3
	s_or_b64 exec, exec, s[42:43]
.LBB16_643:                             ;   in Loop: Header=BB16_473 Depth=3
	s_andn2_saveexec_b64 s[40:41], s[40:41]
	s_cbranch_execz .LBB16_645
; %bb.644:                              ;   in Loop: Header=BB16_473 Depth=3
	;;#ASMSTART
	s_waitcnt lgkmcnt(0) vmcnt(0)
	;;#ASMEND
	s_waitcnt vmcnt(0) lgkmcnt(0)
	s_barrier
.LBB16_645:                             ;   in Loop: Header=BB16_473 Depth=3
	s_or_b64 exec, exec, s[40:41]
	v_and_b32_e32 v0, 16, v56
.LBB16_646:                             ;   in Loop: Header=BB16_473 Depth=3
	s_or_b64 exec, exec, s[28:29]
	v_cmp_ne_u32_e32 vcc, 0, v0
	s_xor_b64 s[28:29], s[20:21], -1
	s_and_b64 s[40:41], vcc, s[28:29]
	s_and_saveexec_b64 s[28:29], s[40:41]
	s_cbranch_execz .LBB16_648
; %bb.647:                              ;   in Loop: Header=BB16_473 Depth=3
	s_waitcnt vmcnt(0)
	flat_store_dword v[30:31], v13
.LBB16_648:                             ;   in Loop: Header=BB16_473 Depth=3
	s_or_b64 exec, exec, s[28:29]
	v_and_b32_e32 v0, 48, v56
	v_cmp_ne_u32_e32 vcc, 0, v0
	s_and_saveexec_b64 s[28:29], vcc
	s_cbranch_execz .LBB16_472
; %bb.649:                              ;   in Loop: Header=BB16_473 Depth=3
	s_waitcnt vmcnt(0)
	v_add_co_u32_e32 v48, vcc, 2, v48
	v_addc_co_u32_e32 v49, vcc, 0, v49, vcc
	flat_store_dwordx2 v[24:25], v[48:49]
	s_branch .LBB16_472
.LBB16_650:                             ;   in Loop: Header=BB16_470 Depth=2
	s_or_b64 exec, exec, s[74:75]
	v_cmp_gt_i32_e32 vcc, 2, v0
	s_and_saveexec_b64 s[40:41], vcc
	s_cbranch_execz .LBB16_726
.LBB16_651:                             ;   in Loop: Header=BB16_470 Depth=2
	v_cmp_eq_u32_e64 s[74:75], 0, v0
	s_mov_b64 s[42:43], 0
	s_branch .LBB16_653
.LBB16_652:                             ;   in Loop: Header=BB16_653 Depth=3
	s_or_b64 exec, exec, s[28:29]
	v_add_u32_e32 v57, v52, v57
	s_mov_b64 s[74:75], 0
	s_andn2_b64 exec, exec, s[42:43]
	s_cbranch_execz .LBB16_727
.LBB16_653:                             ;   Parent Loop BB16_73 Depth=1
                                        ;     Parent Loop BB16_470 Depth=2
                                        ; =>    This Loop Header: Depth=3
                                        ;         Child Loop BB16_659 Depth 4
                                        ;         Child Loop BB16_687 Depth 4
	;; [unrolled: 1-line block ×3, first 2 shown]
	v_sub_u32_e32 v0, v10, v57
	v_min_i32_e32 v52, v52, v0
	v_and_b32_e32 v0, 12, v56
	v_cmp_ne_u32_e32 vcc, 0, v0
	s_and_saveexec_b64 s[76:77], vcc
	s_cbranch_execz .LBB16_679
; %bb.654:                              ;   in Loop: Header=BB16_653 Depth=3
	v_and_b32_e32 v0, 8, v56
	s_waitcnt vmcnt(0) lgkmcnt(0)
	v_add_co_u32_e32 v4, vcc, v32, v0
	v_addc_co_u32_e32 v5, vcc, 0, v33, vcc
	v_add_co_u32_e32 v2, vcc, 2, v48
	v_addc_co_u32_e32 v3, vcc, 0, v49, vcc
	v_cmp_lt_u64_e32 vcc, v[4:5], v[2:3]
	s_and_saveexec_b64 s[78:79], vcc
	s_cbranch_execz .LBB16_666
; %bb.655:                              ;   in Loop: Header=BB16_653 Depth=3
	v_and_b32_e32 v1, 64, v56
	s_mov_b32 s51, 0
	v_cmp_eq_u32_e32 vcc, 0, v1
	s_mov_b64 s[88:89], 0
                                        ; implicit-def: $sgpr90_sgpr91
                                        ; implicit-def: $sgpr92_sgpr93
                                        ; implicit-def: $sgpr94_sgpr95
	s_branch .LBB16_659
.LBB16_656:                             ;   in Loop: Header=BB16_659 Depth=4
	s_waitcnt vmcnt(0) lgkmcnt(0)
	v_add_co_u32_e64 v4, s[28:29], v32, v0
	v_addc_co_u32_e64 v5, s[28:29], 0, v33, s[28:29]
	v_cmp_ge_u64_e64 s[28:29], v[4:5], v[2:3]
	s_or_b64 s[36:37], s[36:37], exec
	s_orn2_b64 s[34:35], s[28:29], exec
.LBB16_657:                             ;   in Loop: Header=BB16_659 Depth=4
	s_or_b64 exec, exec, s[48:49]
	s_andn2_b64 s[28:29], s[94:95], exec
	s_and_b64 s[94:95], s[36:37], exec
	s_or_b64 s[94:95], s[28:29], s[94:95]
	s_andn2_b64 s[28:29], s[92:93], exec
	s_and_b64 s[92:93], s[34:35], exec
	s_or_b64 s[92:93], s[28:29], s[92:93]
.LBB16_658:                             ;   in Loop: Header=BB16_659 Depth=4
	s_or_b64 exec, exec, s[30:31]
	s_and_b64 s[28:29], exec, s[92:93]
	s_or_b64 s[88:89], s[28:29], s[88:89]
	s_andn2_b64 s[28:29], s[90:91], exec
	s_and_b64 s[90:91], s[94:95], exec
	s_or_b64 s[90:91], s[28:29], s[90:91]
	s_andn2_b64 exec, exec, s[88:89]
	s_cbranch_execz .LBB16_663
.LBB16_659:                             ;   Parent Loop BB16_73 Depth=1
                                        ;     Parent Loop BB16_470 Depth=2
                                        ;       Parent Loop BB16_653 Depth=3
                                        ; =>      This Inner Loop Header: Depth=4
	s_sleep 1
	s_waitcnt vmcnt(0) lgkmcnt(0)
	flat_load_dwordx2 v[32:33], v[24:25] glc
	s_or_b64 s[94:95], s[94:95], exec
	s_or_b64 s[92:93], s[92:93], exec
                                        ; implicit-def: $vgpr1
	s_and_saveexec_b64 s[30:31], vcc
	s_cbranch_execz .LBB16_658
; %bb.660:                              ;   in Loop: Header=BB16_659 Depth=4
	s_cmpk_lt_i32 s51, 0x270f
	s_cselect_b64 s[38:39], -1, 0
	s_cmpk_gt_i32 s51, 0x270e
	s_mov_b64 s[34:35], -1
	s_cbranch_scc0 .LBB16_662
; %bb.661:                              ;   in Loop: Header=BB16_659 Depth=4
	s_trap 2
	ds_read_b64 v[4:5], v0
	s_andn2_b64 s[38:39], s[38:39], exec
	s_mov_b32 s51, 0
	s_mov_b64 s[36:37], 0
	s_waitcnt vmcnt(0) lgkmcnt(0)
	flat_load_dword v1, v[4:5] glc
	s_waitcnt vmcnt(0) lgkmcnt(0)
	buffer_wbinvl1_vol
	v_cmp_eq_u32_e64 s[28:29], 0, v1
	s_and_b64 s[28:29], s[28:29], exec
	s_or_b64 s[38:39], s[38:39], s[28:29]
	s_and_saveexec_b64 s[48:49], s[38:39]
	s_cbranch_execz .LBB16_657
	s_branch .LBB16_656
.LBB16_662:                             ;   in Loop: Header=BB16_659 Depth=4
	s_add_i32 s51, s51, 1
	s_mov_b64 s[36:37], -1
                                        ; implicit-def: $vgpr1
	s_and_saveexec_b64 s[48:49], s[38:39]
	s_cbranch_execz .LBB16_657
	s_branch .LBB16_656
.LBB16_663:                             ;   in Loop: Header=BB16_653 Depth=3
	s_or_b64 exec, exec, s[88:89]
	s_xor_b64 s[28:29], s[90:91], -1
	s_and_saveexec_b64 s[88:89], s[28:29]
	s_xor_b64 s[28:29], exec, s[88:89]
	s_cbranch_execz .LBB16_665
; %bb.664:                              ;   in Loop: Header=BB16_653 Depth=3
	v_or_b32_e32 v56, 64, v56
	s_waitcnt lgkmcnt(0)
	ds_write_b32 v0, v1
	s_trap 2
.LBB16_665:                             ;   in Loop: Header=BB16_653 Depth=3
	s_or_b64 exec, exec, s[28:29]
.LBB16_666:                             ;   in Loop: Header=BB16_653 Depth=3
	s_or_b64 exec, exec, s[78:79]
	v_and_b32_e32 v1, 0x108, v56
	v_cmp_ne_u32_e32 vcc, s66, v1
	;;#ASMSTART
	s_wakeup
	;;#ASMEND
	s_and_saveexec_b64 s[28:29], vcc
	s_xor_b64 s[28:29], exec, s[28:29]
                                        ; implicit-def: $vgpr1
; %bb.667:                              ;   in Loop: Header=BB16_653 Depth=3
	v_and_b32_e32 v1, 7, v48
                                        ; implicit-def: $vgpr48_vgpr49
; %bb.668:                              ;   in Loop: Header=BB16_653 Depth=3
	s_andn2_saveexec_b64 s[28:29], s[28:29]
	s_cbranch_execz .LBB16_670
; %bb.669:                              ;   in Loop: Header=BB16_653 Depth=3
	v_and_b32_e32 v1, 7, v48
	v_mad_u64_u32 v[4:5], s[78:79], v1, 24, v[26:27]
	v_ashrrev_i32_e32 v53, 31, v52
	flat_store_dwordx2 v[4:5], v[52:53] offset:8
.LBB16_670:                             ;   in Loop: Header=BB16_653 Depth=3
	s_or_b64 exec, exec, s[28:29]
	v_and_b32_e32 v4, 0x100, v56
	v_cmp_ne_u32_e32 vcc, 0, v4
	s_mov_b64 s[28:29], -1
                                        ; implicit-def: $vgpr4_vgpr5
	s_and_saveexec_b64 s[78:79], vcc
	s_cbranch_execz .LBB16_674
; %bb.671:                              ;   in Loop: Header=BB16_653 Depth=3
	v_mad_u64_u32 v[48:49], s[28:29], v1, 24, v[26:27]
	v_mov_b32_e32 v4, v49
	v_mad_u64_u32 v[4:5], s[28:29], v18, 24, v[4:5]
	v_mov_b32_e32 v49, v4
	flat_load_dword v4, v[48:49]
	s_waitcnt vmcnt(0) lgkmcnt(0)
	v_cmp_ne_u32_e32 vcc, 1, v4
	v_cmp_eq_u32_e64 s[28:29], 1, v4
                                        ; implicit-def: $vgpr4_vgpr5
	s_and_saveexec_b64 s[88:89], s[28:29]
	s_cbranch_execz .LBB16_673
; %bb.672:                              ;   in Loop: Header=BB16_653 Depth=3
	flat_load_dword v4, v[48:49] offset:4 glc
	s_waitcnt vmcnt(0) lgkmcnt(0)
	v_ashrrev_i32_e32 v5, 31, v4
.LBB16_673:                             ;   in Loop: Header=BB16_653 Depth=3
	s_or_b64 exec, exec, s[88:89]
	s_orn2_b64 s[28:29], vcc, exec
.LBB16_674:                             ;   in Loop: Header=BB16_653 Depth=3
	s_or_b64 exec, exec, s[78:79]
	s_and_saveexec_b64 s[78:79], s[28:29]
	s_cbranch_execz .LBB16_676
; %bb.675:                              ;   in Loop: Header=BB16_653 Depth=3
	buffer_load_dword v4, off, s[0:3], s33 offset:68 ; 4-byte Folded Reload
	v_mul_lo_u32 v7, v1, v58
	s_waitcnt vmcnt(0)
	v_mul_lo_u32 v6, v18, v4
	v_mad_u64_u32 v[4:5], s[28:29], v1, v4, 0
	v_add3_u32 v5, v5, v7, v6
.LBB16_676:                             ;   in Loop: Header=BB16_653 Depth=3
	s_or_b64 exec, exec, s[78:79]
	v_cmp_eq_u32_e32 vcc, 0, v0
	v_cndmask_b32_e32 v6, v39, v50, vcc
	v_add_co_u32_e32 v0, vcc, v60, v4
	v_addc_co_u32_e32 v1, vcc, v61, v5, vcc
	v_add_u32_e32 v4, v0, v6
	ds_write_b64 v4, v[0:1] offset:584
	v_and_b32_e32 v0, 0x2000, v56
	v_cmp_ne_u32_e32 vcc, 0, v0
	s_and_saveexec_b64 s[28:29], vcc
	s_cbranch_execz .LBB16_678
; %bb.677:                              ;   in Loop: Header=BB16_653 Depth=3
	ds_read_b64 v[0:1], v0 offset:872
	s_waitcnt lgkmcnt(0)
	v_add_co_u32_e32 v0, vcc, 1, v0
	v_addc_co_u32_e32 v1, vcc, 0, v1, vcc
	ds_write_b64 v0, v[0:1] offset:872
.LBB16_678:                             ;   in Loop: Header=BB16_653 Depth=3
	s_or_b64 exec, exec, s[28:29]
	v_mov_b32_e32 v49, v3
	v_mov_b32_e32 v48, v2
.LBB16_679:                             ;   in Loop: Header=BB16_653 Depth=3
	s_or_b64 exec, exec, s[76:77]
	s_xor_b64 s[28:29], s[74:75], -1
	s_and_b64 s[28:29], exec, s[28:29]
	s_or_b64 s[42:43], s[28:29], s[42:43]
	s_and_saveexec_b64 s[28:29], s[12:13]
	s_cbranch_execz .LBB16_698
; %bb.680:                              ;   in Loop: Header=BB16_653 Depth=3
	s_and_saveexec_b64 s[74:75], s[58:59]
	s_xor_b64 s[74:75], exec, s[74:75]
	s_cbranch_execz .LBB16_695
; %bb.681:                              ;   in Loop: Header=BB16_653 Depth=3
	s_and_saveexec_b64 s[76:77], s[6:7]
	s_cbranch_execz .LBB16_694
; %bb.682:                              ;   in Loop: Header=BB16_653 Depth=3
	s_mov_b64 s[88:89], exec
	v_mbcnt_lo_u32_b32 v0, s88, 0
	v_mbcnt_hi_u32_b32 v0, s89, v0
	v_cmp_eq_u32_e32 vcc, 0, v0
	s_waitcnt vmcnt(0) lgkmcnt(0)
	buffer_wbinvl1_vol
	s_and_saveexec_b64 s[78:79], vcc
	s_cbranch_execz .LBB16_684
; %bb.683:                              ;   in Loop: Header=BB16_653 Depth=3
	s_bcnt1_i32_b64 s88, s[88:89]
	v_mov_b32_e32 v17, s88
	ds_add_u64 v0, v[17:18]
	s_trap 2
.LBB16_684:                             ;   in Loop: Header=BB16_653 Depth=3
	s_or_b64 exec, exec, s[78:79]
	s_trap 2
	ds_read_b64 v[0:1], v0
	s_waitcnt lgkmcnt(0)
	v_add_co_u32_e32 v28, vcc, v28, v62
	v_addc_co_u32_e32 v29, vcc, 0, v29, vcc
	v_cmp_lt_u64_e32 vcc, v[0:1], v[28:29]
	s_and_saveexec_b64 s[78:79], vcc
	s_cbranch_execz .LBB16_693
; %bb.685:                              ;   in Loop: Header=BB16_653 Depth=3
	s_mov_b32 s34, 0
	s_mov_b64 s[88:89], 0
                                        ; implicit-def: $sgpr90_sgpr91
                                        ; implicit-def: $sgpr92_sgpr93
	s_branch .LBB16_687
.LBB16_686:                             ;   in Loop: Header=BB16_687 Depth=4
	s_or_b64 exec, exec, s[30:31]
	s_and_b64 s[94:95], exec, vcc
	s_or_b64 s[88:89], s[94:95], s[88:89]
	s_andn2_b64 s[90:91], s[90:91], exec
	s_and_b64 s[94:95], s[92:93], exec
	s_or_b64 s[90:91], s[90:91], s[94:95]
	s_andn2_b64 exec, exec, s[88:89]
	s_cbranch_execz .LBB16_691
.LBB16_687:                             ;   Parent Loop BB16_73 Depth=1
                                        ;     Parent Loop BB16_470 Depth=2
                                        ;       Parent Loop BB16_653 Depth=3
                                        ; =>      This Inner Loop Header: Depth=4
	s_add_i32 s34, s34, 1
	s_cmpk_lg_i32 s34, 0x2710
	s_cselect_b64 s[94:95], -1, 0
	s_and_b64 vcc, exec, s[94:95]
	s_cbranch_vccz .LBB16_689
; %bb.688:                              ;   in Loop: Header=BB16_687 Depth=4
	s_mov_b64 vcc, -1
	s_or_b64 s[92:93], s[92:93], exec
	s_and_saveexec_b64 s[30:31], s[94:95]
	s_cbranch_execz .LBB16_686
	s_branch .LBB16_690
.LBB16_689:                             ;   in Loop: Header=BB16_687 Depth=4
	s_trap 2
	ds_read_b64 v[0:1], v0
	s_andn2_b64 s[94:95], s[94:95], exec
	s_mov_b32 s34, 0
	s_waitcnt lgkmcnt(0)
	flat_load_dword v0, v[0:1] glc
	s_waitcnt vmcnt(0) lgkmcnt(0)
	buffer_wbinvl1_vol
	v_cmp_eq_u32_e32 vcc, 0, v0
	s_and_b64 vcc, vcc, exec
	s_or_b64 s[94:95], s[94:95], vcc
	s_mov_b64 vcc, -1
	s_or_b64 s[92:93], s[92:93], exec
	s_and_saveexec_b64 s[30:31], s[94:95]
	s_cbranch_execz .LBB16_686
.LBB16_690:                             ;   in Loop: Header=BB16_687 Depth=4
	s_sleep 1
	s_trap 2
	ds_read_b64 v[0:1], v0
	s_waitcnt lgkmcnt(0)
	s_andn2_b64 s[92:93], s[92:93], exec
	v_cmp_ge_u64_e32 vcc, v[0:1], v[28:29]
	s_orn2_b64 vcc, vcc, exec
	s_branch .LBB16_686
.LBB16_691:                             ;   in Loop: Header=BB16_653 Depth=3
	s_or_b64 exec, exec, s[88:89]
	s_and_saveexec_b64 s[88:89], s[90:91]
	s_xor_b64 s[88:89], exec, s[88:89]
	s_cbranch_execz .LBB16_693
; %bb.692:                              ;   in Loop: Header=BB16_653 Depth=3
	ds_write_b32 v0, v13
	s_trap 2
.LBB16_693:                             ;   in Loop: Header=BB16_653 Depth=3
	s_or_b64 exec, exec, s[78:79]
	;;#ASMSTART
	s_wakeup
	;;#ASMEND
.LBB16_694:                             ;   in Loop: Header=BB16_653 Depth=3
	s_or_b64 exec, exec, s[76:77]
.LBB16_695:                             ;   in Loop: Header=BB16_653 Depth=3
	s_andn2_saveexec_b64 s[74:75], s[74:75]
	s_cbranch_execz .LBB16_697
; %bb.696:                              ;   in Loop: Header=BB16_653 Depth=3
	s_waitcnt vmcnt(0) lgkmcnt(0)
	buffer_wbinvl1_vol
	s_barrier
.LBB16_697:                             ;   in Loop: Header=BB16_653 Depth=3
	s_or_b64 exec, exec, s[74:75]
.LBB16_698:                             ;   in Loop: Header=BB16_653 Depth=3
	s_or_b64 exec, exec, s[28:29]
                                        ; implicit-def: $vgpr0
	s_and_saveexec_b64 s[28:29], s[72:73]
	s_xor_b64 s[28:29], exec, s[28:29]
	s_cbranch_execz .LBB16_710
; %bb.699:                              ;   in Loop: Header=BB16_653 Depth=3
	s_and_saveexec_b64 s[74:75], s[58:59]
	s_xor_b64 s[74:75], exec, s[74:75]
	s_cbranch_execz .LBB16_715
; %bb.700:                              ;   in Loop: Header=BB16_653 Depth=3
	s_and_saveexec_b64 s[76:77], s[6:7]
	s_cbranch_execz .LBB16_714
; %bb.701:                              ;   in Loop: Header=BB16_653 Depth=3
	s_mov_b64 s[88:89], exec
	v_mbcnt_lo_u32_b32 v0, s88, 0
	v_mbcnt_hi_u32_b32 v0, s89, v0
	v_cmp_eq_u32_e32 vcc, 0, v0
	;;#ASMSTART
	s_waitcnt lgkmcnt(0) vmcnt(0)
	;;#ASMEND
	s_and_saveexec_b64 s[78:79], vcc
	s_cbranch_execz .LBB16_703
; %bb.702:                              ;   in Loop: Header=BB16_653 Depth=3
	s_bcnt1_i32_b64 s88, s[88:89]
	v_mov_b32_e32 v17, s88
	s_waitcnt lgkmcnt(0)
	ds_add_u64 v0, v[17:18]
	s_trap 2
.LBB16_703:                             ;   in Loop: Header=BB16_653 Depth=3
	s_or_b64 exec, exec, s[78:79]
	s_trap 2
	ds_read_b64 v[0:1], v0
	s_waitcnt lgkmcnt(0)
	v_add_co_u32_e32 v28, vcc, v28, v62
	v_addc_co_u32_e32 v29, vcc, 0, v29, vcc
	v_cmp_lt_u64_e32 vcc, v[0:1], v[28:29]
	s_and_saveexec_b64 s[78:79], vcc
	s_cbranch_execz .LBB16_713
; %bb.704:                              ;   in Loop: Header=BB16_653 Depth=3
	s_mov_b32 s34, 0
	s_mov_b64 s[88:89], 0
                                        ; implicit-def: $sgpr90_sgpr91
                                        ; implicit-def: $sgpr92_sgpr93
	s_branch .LBB16_706
.LBB16_705:                             ;   in Loop: Header=BB16_706 Depth=4
	s_or_b64 exec, exec, s[30:31]
	s_and_b64 s[94:95], exec, vcc
	s_or_b64 s[88:89], s[94:95], s[88:89]
	s_andn2_b64 s[90:91], s[90:91], exec
	s_and_b64 s[94:95], s[92:93], exec
	s_or_b64 s[90:91], s[90:91], s[94:95]
	s_andn2_b64 exec, exec, s[88:89]
	s_cbranch_execz .LBB16_711
.LBB16_706:                             ;   Parent Loop BB16_73 Depth=1
                                        ;     Parent Loop BB16_470 Depth=2
                                        ;       Parent Loop BB16_653 Depth=3
                                        ; =>      This Inner Loop Header: Depth=4
	s_add_i32 s34, s34, 1
	s_cmpk_lg_i32 s34, 0x2710
	s_cselect_b64 s[94:95], -1, 0
	s_and_b64 vcc, exec, s[94:95]
	s_cbranch_vccz .LBB16_708
; %bb.707:                              ;   in Loop: Header=BB16_706 Depth=4
	s_mov_b64 vcc, -1
	s_or_b64 s[92:93], s[92:93], exec
	s_and_saveexec_b64 s[30:31], s[94:95]
	s_cbranch_execz .LBB16_705
	s_branch .LBB16_709
.LBB16_708:                             ;   in Loop: Header=BB16_706 Depth=4
	s_trap 2
	ds_read_b64 v[0:1], v0
	s_andn2_b64 s[94:95], s[94:95], exec
	s_mov_b32 s34, 0
	s_waitcnt vmcnt(0) lgkmcnt(0)
	flat_load_dword v0, v[0:1] glc
	s_waitcnt vmcnt(0) lgkmcnt(0)
	buffer_wbinvl1_vol
	v_cmp_eq_u32_e32 vcc, 0, v0
	s_and_b64 vcc, vcc, exec
	s_or_b64 s[94:95], s[94:95], vcc
	s_mov_b64 vcc, -1
	s_or_b64 s[92:93], s[92:93], exec
	s_and_saveexec_b64 s[30:31], s[94:95]
	s_cbranch_execz .LBB16_705
.LBB16_709:                             ;   in Loop: Header=BB16_706 Depth=4
	s_sleep 1
	s_trap 2
	ds_read_b64 v[0:1], v0
	s_waitcnt lgkmcnt(0)
	s_andn2_b64 s[92:93], s[92:93], exec
	v_cmp_ge_u64_e32 vcc, v[0:1], v[28:29]
	s_orn2_b64 vcc, vcc, exec
	s_branch .LBB16_705
.LBB16_710:                             ;   in Loop: Header=BB16_653 Depth=3
	s_andn2_saveexec_b64 s[28:29], s[28:29]
	s_cbranch_execnz .LBB16_718
	s_branch .LBB16_721
.LBB16_711:                             ;   in Loop: Header=BB16_653 Depth=3
	s_or_b64 exec, exec, s[88:89]
	s_and_saveexec_b64 s[88:89], s[90:91]
	s_xor_b64 s[88:89], exec, s[88:89]
	s_cbranch_execz .LBB16_713
; %bb.712:                              ;   in Loop: Header=BB16_653 Depth=3
	ds_write_b32 v0, v13
	s_trap 2
.LBB16_713:                             ;   in Loop: Header=BB16_653 Depth=3
	s_or_b64 exec, exec, s[78:79]
	;;#ASMSTART
	s_wakeup
	;;#ASMEND
.LBB16_714:                             ;   in Loop: Header=BB16_653 Depth=3
	s_or_b64 exec, exec, s[76:77]
.LBB16_715:                             ;   in Loop: Header=BB16_653 Depth=3
	s_andn2_saveexec_b64 s[74:75], s[74:75]
	s_cbranch_execz .LBB16_717
; %bb.716:                              ;   in Loop: Header=BB16_653 Depth=3
	;;#ASMSTART
	s_waitcnt lgkmcnt(0) vmcnt(0)
	;;#ASMEND
	s_waitcnt vmcnt(0) lgkmcnt(0)
	s_barrier
.LBB16_717:                             ;   in Loop: Header=BB16_653 Depth=3
	s_or_b64 exec, exec, s[74:75]
	v_and_b32_e32 v0, 16, v56
	s_andn2_saveexec_b64 s[28:29], s[28:29]
	s_cbranch_execz .LBB16_721
.LBB16_718:                             ;   in Loop: Header=BB16_653 Depth=3
	s_trap 2
	ds_read_b32 v0, v0
	v_cmp_lt_i32_e32 vcc, 0, v52
	v_and_b32_e32 v1, 16, v56
	s_waitcnt lgkmcnt(0)
	v_readfirstlane_b32 s74, v0
	s_cmp_eq_u32 s74, 0
	s_cselect_b64 s[74:75], -1, 0
	s_and_b64 s[74:75], vcc, s[74:75]
	v_cmp_ne_u32_e32 vcc, 0, v1
	v_and_b32_e32 v0, 16, v56
	s_and_b64 s[76:77], vcc, s[74:75]
	s_and_saveexec_b64 s[74:75], s[76:77]
	s_cbranch_execz .LBB16_720
; %bb.719:                              ;   in Loop: Header=BB16_653 Depth=3
	v_mov_b32_e32 v0, 1
	s_waitcnt vmcnt(0)
	buffer_wbinvl1_vol
.LBB16_720:                             ;   in Loop: Header=BB16_653 Depth=3
	s_or_b64 exec, exec, s[74:75]
.LBB16_721:                             ;   in Loop: Header=BB16_653 Depth=3
	s_or_b64 exec, exec, s[28:29]
	v_cmp_ne_u32_e32 vcc, 0, v0
	s_xor_b64 s[28:29], s[20:21], -1
	s_and_b64 s[74:75], vcc, s[28:29]
	s_and_saveexec_b64 s[28:29], s[74:75]
	s_cbranch_execz .LBB16_723
; %bb.722:                              ;   in Loop: Header=BB16_653 Depth=3
	flat_store_dword v[30:31], v13
.LBB16_723:                             ;   in Loop: Header=BB16_653 Depth=3
	s_or_b64 exec, exec, s[28:29]
	v_and_b32_e32 v0, 48, v56
	v_cmp_ne_u32_e32 vcc, 0, v0
	s_and_saveexec_b64 s[28:29], vcc
	s_cbranch_execz .LBB16_652
; %bb.724:                              ;   in Loop: Header=BB16_653 Depth=3
	v_add_co_u32_e32 v48, vcc, 2, v48
	v_addc_co_u32_e32 v49, vcc, 0, v49, vcc
	flat_store_dwordx2 v[24:25], v[48:49]
	s_branch .LBB16_652
.LBB16_725:                             ;   in Loop: Header=BB16_470 Depth=2
	s_or_b64 exec, exec, s[76:77]
	buffer_load_dword v23, off, s[0:3], s33 offset:144 ; 4-byte Folded Reload
	buffer_load_dword v54, off, s[0:3], s33 offset:188 ; 4-byte Folded Reload
	s_or_b64 exec, exec, s[74:75]
	v_cmp_gt_i32_e32 vcc, 2, v0
	s_and_saveexec_b64 s[40:41], vcc
	s_cbranch_execnz .LBB16_651
.LBB16_726:                             ;   in Loop: Header=BB16_470 Depth=2
	s_or_b64 exec, exec, s[40:41]
	s_add_i32 s28, s50, 1
	s_cmp_eq_u32 s50, s64
	s_cbranch_scc0 .LBB16_728
	s_branch .LBB16_729
.LBB16_727:                             ;   in Loop: Header=BB16_470 Depth=2
	s_or_b64 exec, exec, s[42:43]
	s_or_b64 exec, exec, s[40:41]
	s_add_i32 s28, s50, 1
	s_cmp_eq_u32 s50, s64
	s_cbranch_scc1 .LBB16_729
.LBB16_728:                             ;   in Loop: Header=BB16_470 Depth=2
	s_mov_b32 s50, s28
	s_branch .LBB16_470
.LBB16_729:                             ;   in Loop: Header=BB16_73 Depth=1
	buffer_load_dword v21, off, s[0:3], s33 offset:172 ; 4-byte Folded Reload
	buffer_load_dword v34, off, s[0:3], s33 offset:176 ; 4-byte Folded Reload
	v_lshlrev_b32_e32 v52, 13, v62
	v_mov_b32_e32 v0, 0
	v_mov_b32_e32 v40, 0
	s_and_saveexec_b64 s[28:29], s[26:27]
	s_cbranch_execnz .LBB16_805
	s_branch .LBB16_945
.LBB16_730:                             ;   in Loop: Header=BB16_73 Depth=1
	s_or_b64 exec, exec, s[74:75]
.LBB16_731:                             ;   in Loop: Header=BB16_73 Depth=1
	s_or_b64 exec, exec, s[42:43]
	v_cmp_gt_i32_e32 vcc, 2, v0
	s_and_saveexec_b64 s[42:43], vcc
	s_cbranch_execz .LBB16_803
; %bb.732:                              ;   in Loop: Header=BB16_73 Depth=1
	v_cmp_eq_u32_e64 s[76:77], 0, v0
	s_mov_b64 s[74:75], 0
	s_branch .LBB16_735
.LBB16_733:                             ;   in Loop: Header=BB16_735 Depth=2
	s_or_b64 exec, exec, s[76:77]
	v_add_co_u32_e32 v48, vcc, 2, v48
	v_addc_co_u32_e32 v49, vcc, 0, v49, vcc
	flat_store_dwordx2 v[24:25], v[48:49]
.LBB16_734:                             ;   in Loop: Header=BB16_735 Depth=2
	s_or_b64 exec, exec, s[28:29]
	v_add_u32_e32 v42, v2, v42
	s_mov_b64 s[76:77], 0
	s_andn2_b64 exec, exec, s[74:75]
	s_cbranch_execz .LBB16_802
.LBB16_735:                             ;   Parent Loop BB16_73 Depth=1
                                        ; =>  This Loop Header: Depth=2
                                        ;       Child Loop BB16_741 Depth 3
                                        ;       Child Loop BB16_765 Depth 3
	;; [unrolled: 1-line block ×3, first 2 shown]
	v_sub_u32_e32 v0, v10, v42
	v_min_i32_e32 v2, v2, v0
	v_and_b32_e32 v0, 8, v56
	v_cmp_ne_u32_e32 vcc, 0, v0
	s_and_saveexec_b64 s[78:79], vcc
	s_cbranch_execz .LBB16_757
; %bb.736:                              ;   in Loop: Header=BB16_735 Depth=2
	s_waitcnt vmcnt(0) lgkmcnt(0)
	v_add_co_u32_e32 v0, vcc, 8, v32
	v_addc_co_u32_e32 v1, vcc, 0, v33, vcc
	v_add_co_u32_e32 v4, vcc, 2, v48
	v_addc_co_u32_e32 v5, vcc, 0, v49, vcc
	v_cmp_lt_u64_e32 vcc, v[0:1], v[4:5]
	s_and_saveexec_b64 s[88:89], vcc
	s_cbranch_execz .LBB16_748
; %bb.737:                              ;   in Loop: Header=BB16_735 Depth=2
	v_and_b32_e32 v0, 64, v56
	s_mov_b32 s67, 0
	v_cmp_eq_u32_e32 vcc, 0, v0
	s_mov_b64 s[90:91], 0
                                        ; implicit-def: $sgpr92_sgpr93
                                        ; implicit-def: $sgpr94_sgpr95
                                        ; implicit-def: $sgpr30_sgpr31
	s_branch .LBB16_741
.LBB16_738:                             ;   in Loop: Header=BB16_741 Depth=3
	s_waitcnt vmcnt(0) lgkmcnt(0)
	v_add_co_u32_e64 v6, s[28:29], 8, v32
	v_addc_co_u32_e64 v7, s[28:29], 0, v33, s[28:29]
	v_cmp_ge_u64_e64 s[28:29], v[6:7], v[4:5]
	s_or_b64 s[38:39], s[38:39], exec
	s_orn2_b64 s[36:37], s[28:29], exec
.LBB16_739:                             ;   in Loop: Header=BB16_741 Depth=3
	s_or_b64 exec, exec, s[50:51]
	s_andn2_b64 s[28:29], s[30:31], exec
	s_and_b64 s[30:31], s[38:39], exec
	s_or_b64 s[30:31], s[28:29], s[30:31]
	s_andn2_b64 s[28:29], s[94:95], exec
	s_and_b64 s[94:95], s[36:37], exec
	s_or_b64 s[94:95], s[28:29], s[94:95]
.LBB16_740:                             ;   in Loop: Header=BB16_741 Depth=3
	s_or_b64 exec, exec, s[34:35]
	s_and_b64 s[28:29], exec, s[94:95]
	s_or_b64 s[90:91], s[28:29], s[90:91]
	s_andn2_b64 s[28:29], s[92:93], exec
	s_and_b64 s[92:93], s[30:31], exec
	s_or_b64 s[92:93], s[28:29], s[92:93]
	s_andn2_b64 exec, exec, s[90:91]
	s_cbranch_execz .LBB16_745
.LBB16_741:                             ;   Parent Loop BB16_73 Depth=1
                                        ;     Parent Loop BB16_735 Depth=2
                                        ; =>    This Inner Loop Header: Depth=3
	s_sleep 1
	s_waitcnt vmcnt(0) lgkmcnt(0)
	flat_load_dwordx2 v[32:33], v[24:25] glc
	s_or_b64 s[30:31], s[30:31], exec
	s_or_b64 s[94:95], s[94:95], exec
                                        ; implicit-def: $vgpr0
	s_and_saveexec_b64 s[34:35], vcc
	s_cbranch_execz .LBB16_740
; %bb.742:                              ;   in Loop: Header=BB16_741 Depth=3
	s_cmpk_lt_i32 s67, 0x270f
	s_cselect_b64 s[48:49], -1, 0
	s_cmpk_gt_i32 s67, 0x270e
	s_mov_b64 s[36:37], -1
	s_cbranch_scc0 .LBB16_744
; %bb.743:                              ;   in Loop: Header=BB16_741 Depth=3
	s_trap 2
	ds_read_b64 v[0:1], v0
	s_andn2_b64 s[48:49], s[48:49], exec
	s_mov_b32 s67, 0
	s_mov_b64 s[38:39], 0
	s_waitcnt vmcnt(0) lgkmcnt(0)
	flat_load_dword v0, v[0:1] glc
	s_waitcnt vmcnt(0) lgkmcnt(0)
	buffer_wbinvl1_vol
	v_cmp_eq_u32_e64 s[28:29], 0, v0
	s_and_b64 s[28:29], s[28:29], exec
	s_or_b64 s[48:49], s[48:49], s[28:29]
	s_and_saveexec_b64 s[50:51], s[48:49]
	s_cbranch_execz .LBB16_739
	s_branch .LBB16_738
.LBB16_744:                             ;   in Loop: Header=BB16_741 Depth=3
	s_add_i32 s67, s67, 1
	s_mov_b64 s[38:39], -1
                                        ; implicit-def: $vgpr0
	s_and_saveexec_b64 s[50:51], s[48:49]
	s_cbranch_execz .LBB16_739
	s_branch .LBB16_738
.LBB16_745:                             ;   in Loop: Header=BB16_735 Depth=2
	s_or_b64 exec, exec, s[90:91]
	s_xor_b64 s[28:29], s[92:93], -1
	s_and_saveexec_b64 s[90:91], s[28:29]
	s_xor_b64 s[28:29], exec, s[90:91]
	s_cbranch_execz .LBB16_747
; %bb.746:                              ;   in Loop: Header=BB16_735 Depth=2
	v_or_b32_e32 v56, 64, v56
	s_waitcnt lgkmcnt(0)
	ds_write_b32 v0, v0
	s_trap 2
.LBB16_747:                             ;   in Loop: Header=BB16_735 Depth=2
	s_or_b64 exec, exec, s[28:29]
.LBB16_748:                             ;   in Loop: Header=BB16_735 Depth=2
	s_or_b64 exec, exec, s[88:89]
	v_and_b32_e32 v0, 0x100, v56
	v_cmp_ne_u32_e32 vcc, 0, v0
	v_and_b32_e32 v0, 7, v48
	s_mov_b64 s[28:29], -1
	;;#ASMSTART
	s_wakeup
	;;#ASMEND
                                        ; implicit-def: $vgpr48_vgpr49
	s_and_saveexec_b64 s[88:89], vcc
	s_cbranch_execz .LBB16_752
; %bb.749:                              ;   in Loop: Header=BB16_735 Depth=2
	v_mad_u64_u32 v[52:53], s[28:29], v0, 24, v[26:27]
	v_ashrrev_i32_e32 v3, 31, v2
                                        ; implicit-def: $vgpr48_vgpr49
	flat_load_dword v1, v[52:53]
	s_nop 0
	flat_store_dwordx2 v[52:53], v[2:3] offset:8
	s_waitcnt vmcnt(0) lgkmcnt(0)
	v_cmp_ne_u32_e32 vcc, 1, v1
	v_cmp_eq_u32_e64 s[28:29], 1, v1
	s_and_saveexec_b64 s[90:91], s[28:29]
	s_cbranch_execz .LBB16_751
; %bb.750:                              ;   in Loop: Header=BB16_735 Depth=2
	flat_load_dword v48, v[52:53] offset:4 glc
	s_waitcnt vmcnt(0) lgkmcnt(0)
	v_ashrrev_i32_e32 v49, 31, v48
.LBB16_751:                             ;   in Loop: Header=BB16_735 Depth=2
	s_or_b64 exec, exec, s[90:91]
	buffer_load_dword v21, off, s[0:3], s33 offset:172 ; 4-byte Folded Reload
	buffer_load_dword v34, off, s[0:3], s33 offset:176 ; 4-byte Folded Reload
	s_orn2_b64 s[28:29], vcc, exec
	v_lshlrev_b32_e32 v52, 13, v62
.LBB16_752:                             ;   in Loop: Header=BB16_735 Depth=2
	s_or_b64 exec, exec, s[88:89]
	s_and_saveexec_b64 s[88:89], s[28:29]
	s_cbranch_execz .LBB16_754
; %bb.753:                              ;   in Loop: Header=BB16_735 Depth=2
	buffer_load_dword v1, off, s[0:3], s33 offset:68 ; 4-byte Folded Reload
	s_waitcnt vmcnt(0)
	v_mad_i64_i32 v[48:49], s[28:29], v0, v1, 0
.LBB16_754:                             ;   in Loop: Header=BB16_735 Depth=2
	s_or_b64 exec, exec, s[88:89]
	v_add_co_u32_e32 v0, vcc, v60, v48
	v_addc_co_u32_e32 v1, vcc, v61, v49, vcc
	ds_write_b64 v0, v[0:1] offset:784
	v_and_b32_e32 v0, 0x2000, v56
	v_cmp_ne_u32_e32 vcc, 0, v0
	s_and_saveexec_b64 s[28:29], vcc
	s_cbranch_execz .LBB16_756
; %bb.755:                              ;   in Loop: Header=BB16_735 Depth=2
	ds_read_b64 v[0:1], v0 offset:872
	s_waitcnt lgkmcnt(0)
	v_add_co_u32_e32 v0, vcc, 1, v0
	v_addc_co_u32_e32 v1, vcc, 0, v1, vcc
	ds_write_b64 v0, v[0:1] offset:872
.LBB16_756:                             ;   in Loop: Header=BB16_735 Depth=2
	s_or_b64 exec, exec, s[28:29]
	v_mov_b32_e32 v49, v5
	v_mov_b32_e32 v48, v4
.LBB16_757:                             ;   in Loop: Header=BB16_735 Depth=2
	s_or_b64 exec, exec, s[78:79]
	s_xor_b64 s[28:29], s[76:77], -1
	s_and_b64 s[28:29], exec, s[28:29]
	s_or_b64 s[74:75], s[28:29], s[74:75]
	s_and_saveexec_b64 s[28:29], s[12:13]
	s_cbranch_execz .LBB16_776
; %bb.758:                              ;   in Loop: Header=BB16_735 Depth=2
	s_and_saveexec_b64 s[76:77], s[58:59]
	s_xor_b64 s[76:77], exec, s[76:77]
	s_cbranch_execz .LBB16_773
; %bb.759:                              ;   in Loop: Header=BB16_735 Depth=2
	s_and_saveexec_b64 s[78:79], s[6:7]
	s_cbranch_execz .LBB16_772
; %bb.760:                              ;   in Loop: Header=BB16_735 Depth=2
	s_mov_b64 s[90:91], exec
	v_mbcnt_lo_u32_b32 v0, s90, 0
	v_mbcnt_hi_u32_b32 v0, s91, v0
	v_cmp_eq_u32_e32 vcc, 0, v0
	s_waitcnt vmcnt(0) lgkmcnt(0)
	buffer_wbinvl1_vol
	s_and_saveexec_b64 s[88:89], vcc
	s_cbranch_execz .LBB16_762
; %bb.761:                              ;   in Loop: Header=BB16_735 Depth=2
	s_bcnt1_i32_b64 s90, s[90:91]
	v_mov_b32_e32 v17, s90
	ds_add_u64 v0, v[17:18]
	s_trap 2
.LBB16_762:                             ;   in Loop: Header=BB16_735 Depth=2
	s_or_b64 exec, exec, s[88:89]
	s_trap 2
	ds_read_b64 v[0:1], v0
	s_waitcnt lgkmcnt(0)
	v_add_co_u32_e32 v28, vcc, v28, v62
	v_addc_co_u32_e32 v29, vcc, 0, v29, vcc
	v_cmp_lt_u64_e32 vcc, v[0:1], v[28:29]
	s_and_saveexec_b64 s[88:89], vcc
	s_cbranch_execz .LBB16_771
; %bb.763:                              ;   in Loop: Header=BB16_735 Depth=2
	s_mov_b32 s36, 0
	s_mov_b64 s[90:91], 0
                                        ; implicit-def: $sgpr92_sgpr93
                                        ; implicit-def: $sgpr94_sgpr95
	s_branch .LBB16_765
.LBB16_764:                             ;   in Loop: Header=BB16_765 Depth=3
	s_or_b64 exec, exec, s[34:35]
	s_and_b64 vcc, exec, vcc
	s_or_b64 s[90:91], vcc, s[90:91]
	s_andn2_b64 s[92:93], s[92:93], exec
	s_and_b64 vcc, s[94:95], exec
	s_or_b64 s[92:93], s[92:93], vcc
	s_andn2_b64 exec, exec, s[90:91]
	s_cbranch_execz .LBB16_769
.LBB16_765:                             ;   Parent Loop BB16_73 Depth=1
                                        ;     Parent Loop BB16_735 Depth=2
                                        ; =>    This Inner Loop Header: Depth=3
	s_add_i32 s36, s36, 1
	s_cmpk_lg_i32 s36, 0x2710
	s_cselect_b64 s[30:31], -1, 0
	s_and_b64 vcc, exec, s[30:31]
	s_cbranch_vccz .LBB16_767
; %bb.766:                              ;   in Loop: Header=BB16_765 Depth=3
	s_mov_b64 vcc, -1
	s_or_b64 s[94:95], s[94:95], exec
	s_and_saveexec_b64 s[34:35], s[30:31]
	s_cbranch_execz .LBB16_764
	s_branch .LBB16_768
.LBB16_767:                             ;   in Loop: Header=BB16_765 Depth=3
	s_trap 2
	ds_read_b64 v[0:1], v0
	s_andn2_b64 s[30:31], s[30:31], exec
	s_mov_b32 s36, 0
	s_waitcnt lgkmcnt(0)
	flat_load_dword v0, v[0:1] glc
	s_waitcnt vmcnt(0) lgkmcnt(0)
	buffer_wbinvl1_vol
	v_cmp_eq_u32_e32 vcc, 0, v0
	s_and_b64 vcc, vcc, exec
	s_or_b64 s[30:31], s[30:31], vcc
	s_mov_b64 vcc, -1
	s_or_b64 s[94:95], s[94:95], exec
	s_and_saveexec_b64 s[34:35], s[30:31]
	s_cbranch_execz .LBB16_764
.LBB16_768:                             ;   in Loop: Header=BB16_765 Depth=3
	s_sleep 1
	s_trap 2
	ds_read_b64 v[0:1], v0
	s_waitcnt lgkmcnt(0)
	s_andn2_b64 s[94:95], s[94:95], exec
	v_cmp_ge_u64_e32 vcc, v[0:1], v[28:29]
	s_orn2_b64 vcc, vcc, exec
	s_branch .LBB16_764
.LBB16_769:                             ;   in Loop: Header=BB16_735 Depth=2
	s_or_b64 exec, exec, s[90:91]
	s_and_saveexec_b64 s[90:91], s[92:93]
	s_xor_b64 s[90:91], exec, s[90:91]
	s_cbranch_execz .LBB16_771
; %bb.770:                              ;   in Loop: Header=BB16_735 Depth=2
	ds_write_b32 v0, v13
	s_trap 2
.LBB16_771:                             ;   in Loop: Header=BB16_735 Depth=2
	s_or_b64 exec, exec, s[88:89]
	;;#ASMSTART
	s_wakeup
	;;#ASMEND
.LBB16_772:                             ;   in Loop: Header=BB16_735 Depth=2
	s_or_b64 exec, exec, s[78:79]
.LBB16_773:                             ;   in Loop: Header=BB16_735 Depth=2
	s_andn2_saveexec_b64 s[76:77], s[76:77]
	s_cbranch_execz .LBB16_775
; %bb.774:                              ;   in Loop: Header=BB16_735 Depth=2
	s_waitcnt vmcnt(0) lgkmcnt(0)
	buffer_wbinvl1_vol
	s_barrier
.LBB16_775:                             ;   in Loop: Header=BB16_735 Depth=2
	s_or_b64 exec, exec, s[76:77]
.LBB16_776:                             ;   in Loop: Header=BB16_735 Depth=2
	s_or_b64 exec, exec, s[28:29]
                                        ; implicit-def: $vgpr0
	s_and_saveexec_b64 s[28:29], s[18:19]
	s_xor_b64 s[28:29], exec, s[28:29]
	s_cbranch_execz .LBB16_781
; %bb.777:                              ;   in Loop: Header=BB16_735 Depth=2
	s_trap 2
	ds_read_b32 v0, v0
	v_cmp_lt_i32_e32 vcc, 0, v2
	v_and_b32_e32 v1, 16, v56
	s_waitcnt lgkmcnt(0)
	v_readfirstlane_b32 s76, v0
	s_cmp_eq_u32 s76, 0
	s_cselect_b64 s[76:77], -1, 0
	s_and_b64 s[76:77], vcc, s[76:77]
	v_cmp_ne_u32_e32 vcc, 0, v1
	v_and_b32_e32 v0, 16, v56
	s_and_b64 s[78:79], vcc, s[76:77]
	s_and_saveexec_b64 s[76:77], s[78:79]
	s_cbranch_execz .LBB16_779
; %bb.778:                              ;   in Loop: Header=BB16_735 Depth=2
	v_mov_b32_e32 v0, 1
	s_waitcnt vmcnt(0)
	buffer_wbinvl1_vol
.LBB16_779:                             ;   in Loop: Header=BB16_735 Depth=2
	s_or_b64 exec, exec, s[76:77]
	s_andn2_saveexec_b64 s[28:29], s[28:29]
	s_cbranch_execnz .LBB16_782
.LBB16_780:                             ;   in Loop: Header=BB16_735 Depth=2
	s_or_b64 exec, exec, s[28:29]
	v_cmp_ne_u32_e32 vcc, 0, v0
	s_and_saveexec_b64 s[28:29], vcc
	s_cbranch_execz .LBB16_734
	s_branch .LBB16_800
.LBB16_781:                             ;   in Loop: Header=BB16_735 Depth=2
	s_andn2_saveexec_b64 s[28:29], s[28:29]
	s_cbranch_execz .LBB16_780
.LBB16_782:                             ;   in Loop: Header=BB16_735 Depth=2
	s_and_saveexec_b64 s[76:77], s[58:59]
	s_xor_b64 s[76:77], exec, s[76:77]
	s_cbranch_execz .LBB16_797
; %bb.783:                              ;   in Loop: Header=BB16_735 Depth=2
	s_and_saveexec_b64 s[78:79], s[6:7]
	s_cbranch_execz .LBB16_796
; %bb.784:                              ;   in Loop: Header=BB16_735 Depth=2
	s_mov_b64 s[90:91], exec
	v_mbcnt_lo_u32_b32 v0, s90, 0
	v_mbcnt_hi_u32_b32 v0, s91, v0
	v_cmp_eq_u32_e32 vcc, 0, v0
	;;#ASMSTART
	s_waitcnt lgkmcnt(0) vmcnt(0)
	;;#ASMEND
	s_and_saveexec_b64 s[88:89], vcc
	s_cbranch_execz .LBB16_786
; %bb.785:                              ;   in Loop: Header=BB16_735 Depth=2
	s_bcnt1_i32_b64 s90, s[90:91]
	v_mov_b32_e32 v17, s90
	s_waitcnt lgkmcnt(0)
	ds_add_u64 v0, v[17:18]
	s_trap 2
.LBB16_786:                             ;   in Loop: Header=BB16_735 Depth=2
	s_or_b64 exec, exec, s[88:89]
	s_trap 2
	ds_read_b64 v[0:1], v0
	s_waitcnt lgkmcnt(0)
	v_add_co_u32_e32 v28, vcc, v28, v62
	v_addc_co_u32_e32 v29, vcc, 0, v29, vcc
	v_cmp_lt_u64_e32 vcc, v[0:1], v[28:29]
	s_and_saveexec_b64 s[88:89], vcc
	s_cbranch_execz .LBB16_795
; %bb.787:                              ;   in Loop: Header=BB16_735 Depth=2
	s_mov_b32 s36, 0
	s_mov_b64 s[90:91], 0
                                        ; implicit-def: $sgpr92_sgpr93
                                        ; implicit-def: $sgpr94_sgpr95
	s_branch .LBB16_789
.LBB16_788:                             ;   in Loop: Header=BB16_789 Depth=3
	s_or_b64 exec, exec, s[34:35]
	s_and_b64 vcc, exec, vcc
	s_or_b64 s[90:91], vcc, s[90:91]
	s_andn2_b64 s[92:93], s[92:93], exec
	s_and_b64 vcc, s[94:95], exec
	s_or_b64 s[92:93], s[92:93], vcc
	s_andn2_b64 exec, exec, s[90:91]
	s_cbranch_execz .LBB16_793
.LBB16_789:                             ;   Parent Loop BB16_73 Depth=1
                                        ;     Parent Loop BB16_735 Depth=2
                                        ; =>    This Inner Loop Header: Depth=3
	s_add_i32 s36, s36, 1
	s_cmpk_lg_i32 s36, 0x2710
	s_cselect_b64 s[30:31], -1, 0
	s_and_b64 vcc, exec, s[30:31]
	s_cbranch_vccz .LBB16_791
; %bb.790:                              ;   in Loop: Header=BB16_789 Depth=3
	s_mov_b64 vcc, -1
	s_or_b64 s[94:95], s[94:95], exec
	s_and_saveexec_b64 s[34:35], s[30:31]
	s_cbranch_execz .LBB16_788
	s_branch .LBB16_792
.LBB16_791:                             ;   in Loop: Header=BB16_789 Depth=3
	s_trap 2
	ds_read_b64 v[0:1], v0
	s_andn2_b64 s[30:31], s[30:31], exec
	s_mov_b32 s36, 0
	s_waitcnt vmcnt(0) lgkmcnt(0)
	flat_load_dword v0, v[0:1] glc
	s_waitcnt vmcnt(0) lgkmcnt(0)
	buffer_wbinvl1_vol
	v_cmp_eq_u32_e32 vcc, 0, v0
	s_and_b64 vcc, vcc, exec
	s_or_b64 s[30:31], s[30:31], vcc
	s_mov_b64 vcc, -1
	s_or_b64 s[94:95], s[94:95], exec
	s_and_saveexec_b64 s[34:35], s[30:31]
	s_cbranch_execz .LBB16_788
.LBB16_792:                             ;   in Loop: Header=BB16_789 Depth=3
	s_sleep 1
	s_trap 2
	ds_read_b64 v[0:1], v0
	s_waitcnt lgkmcnt(0)
	s_andn2_b64 s[94:95], s[94:95], exec
	v_cmp_ge_u64_e32 vcc, v[0:1], v[28:29]
	s_orn2_b64 vcc, vcc, exec
	s_branch .LBB16_788
.LBB16_793:                             ;   in Loop: Header=BB16_735 Depth=2
	s_or_b64 exec, exec, s[90:91]
	s_and_saveexec_b64 s[90:91], s[92:93]
	s_xor_b64 s[90:91], exec, s[90:91]
	s_cbranch_execz .LBB16_795
; %bb.794:                              ;   in Loop: Header=BB16_735 Depth=2
	ds_write_b32 v0, v13
	s_trap 2
.LBB16_795:                             ;   in Loop: Header=BB16_735 Depth=2
	s_or_b64 exec, exec, s[88:89]
	;;#ASMSTART
	s_wakeup
	;;#ASMEND
.LBB16_796:                             ;   in Loop: Header=BB16_735 Depth=2
	s_or_b64 exec, exec, s[78:79]
.LBB16_797:                             ;   in Loop: Header=BB16_735 Depth=2
	s_andn2_saveexec_b64 s[76:77], s[76:77]
	s_cbranch_execz .LBB16_799
; %bb.798:                              ;   in Loop: Header=BB16_735 Depth=2
	;;#ASMSTART
	s_waitcnt lgkmcnt(0) vmcnt(0)
	;;#ASMEND
	s_waitcnt vmcnt(0) lgkmcnt(0)
	s_barrier
.LBB16_799:                             ;   in Loop: Header=BB16_735 Depth=2
	s_or_b64 exec, exec, s[76:77]
	v_and_b32_e32 v0, 16, v56
	s_or_b64 exec, exec, s[28:29]
	v_cmp_ne_u32_e32 vcc, 0, v0
	s_and_saveexec_b64 s[28:29], vcc
	s_cbranch_execz .LBB16_734
.LBB16_800:                             ;   in Loop: Header=BB16_735 Depth=2
	s_and_saveexec_b64 s[76:77], s[22:23]
	s_cbranch_execz .LBB16_733
; %bb.801:                              ;   in Loop: Header=BB16_735 Depth=2
	flat_store_dword v[30:31], v13
	s_branch .LBB16_733
.LBB16_802:                             ;   in Loop: Header=BB16_73 Depth=1
	s_or_b64 exec, exec, s[74:75]
.LBB16_803:                             ;   in Loop: Header=BB16_73 Depth=1
	s_or_b64 exec, exec, s[42:43]
	s_or_b64 exec, exec, s[40:41]
	s_andn2_b64 vcc, exec, s[62:63]
	s_cbranch_vccz .LBB16_469
.LBB16_804:                             ;   in Loop: Header=BB16_73 Depth=1
	v_mov_b32_e32 v0, 0
	v_mov_b32_e32 v40, 0
	s_and_saveexec_b64 s[28:29], s[26:27]
	s_cbranch_execz .LBB16_945
.LBB16_805:                             ;   in Loop: Header=BB16_73 Depth=1
	buffer_load_dword v0, off, s[0:3], s33 offset:200 ; 4-byte Folded Reload
	buffer_load_dword v1, off, s[0:3], s33 offset:204 ; 4-byte Folded Reload
	s_mov_b32 s48, 1
	s_mov_b64 s[42:43], -1
	v_mov_b32_e32 v40, 0
	s_mov_b64 s[40:41], 0
	s_waitcnt vmcnt(0)
	flat_load_dword v0, v[0:1] offset:4
	s_nop 0
	buffer_load_dword v4, off, s[0:3], s33 offset:208 ; 4-byte Folded Reload
	buffer_load_dword v2, off, s[0:3], s33 offset:180 ; 4-byte Folded Reload
	;; [unrolled: 1-line block ×4, first 2 shown]
	s_waitcnt vmcnt(0) lgkmcnt(0)
	v_ashrrev_i32_e32 v1, 31, v0
	v_mad_u64_u32 v[2:3], s[26:27], v4, v0, v[2:3]
	v_mul_lo_u32 v0, v5, v0
	v_mul_lo_u32 v1, v4, v1
	v_add3_u32 v3, v0, v3, v1
	buffer_store_dword v2, off, s[0:3], s33 offset:148 ; 4-byte Folded Spill
	s_nop 0
	buffer_store_dword v3, off, s[0:3], s33 offset:152 ; 4-byte Folded Spill
	s_branch .LBB16_807
.LBB16_806:                             ;   in Loop: Header=BB16_807 Depth=2
	s_or_b64 exec, exec, s[26:27]
	v_add_u32_e32 v40, v54, v40
	s_waitcnt vmcnt(0)
	v_cmp_ge_i32_e32 vcc, v40, v10
	s_xor_b64 s[26:27], s[42:43], -1
	s_or_b64 s[26:27], s[26:27], vcc
	s_and_b64 s[26:27], exec, s[26:27]
	s_or_b64 s[40:41], s[26:27], s[40:41]
	s_mov_b64 s[42:43], 0
	v_mov_b32_e32 v0, s48
	s_mov_b32 s48, 2
	s_andn2_b64 exec, exec, s[40:41]
	s_cbranch_execz .LBB16_944
.LBB16_807:                             ;   Parent Loop BB16_73 Depth=1
                                        ; =>  This Loop Header: Depth=2
                                        ;       Child Loop BB16_815 Depth 3
                                        ;       Child Loop BB16_839 Depth 3
	;; [unrolled: 1-line block ×9, first 2 shown]
	s_and_saveexec_b64 s[26:27], s[4:5]
	s_cbranch_execz .LBB16_809
; %bb.808:                              ;   in Loop: Header=BB16_807 Depth=2
	s_trap 2
	ds_read_b128 v[4:7], v0
	s_waitcnt lgkmcnt(0)
	v_add_co_u32_e32 v0, vcc, v4, v2
	v_addc_co_u32_e32 v1, vcc, v5, v3, vcc
	v_ashrrev_i32_e32 v4, 31, v40
	v_add_co_u32_e32 v0, vcc, v0, v40
	v_addc_co_u32_e32 v1, vcc, v1, v4, vcc
	ds_write_b64 v0, v[0:1]
	v_add_co_u32_e32 v0, vcc, v6, v2
	v_addc_co_u32_e32 v1, vcc, v7, v3, vcc
	v_add_co_u32_e32 v0, vcc, v0, v40
	v_addc_co_u32_e32 v1, vcc, v1, v4, vcc
	v_cmp_ne_u64_e32 vcc, 0, v[6:7]
	v_cndmask_b32_e32 v1, 0, v1, vcc
	v_cndmask_b32_e32 v0, 0, v0, vcc
	ds_write_b64 v0, v[0:1]
.LBB16_809:                             ;   in Loop: Header=BB16_807 Depth=2
	s_or_b64 exec, exec, s[26:27]
	v_and_b32_e32 v0, 4, v56
	v_cmp_ne_u32_e32 vcc, 0, v0
	s_and_saveexec_b64 s[74:75], vcc
	s_cbranch_execz .LBB16_831
; %bb.810:                              ;   in Loop: Header=BB16_807 Depth=2
	v_add_co_u32_e32 v4, vcc, 2, v48
	v_addc_co_u32_e32 v5, vcc, 0, v49, vcc
	v_cmp_lt_u64_e32 vcc, v[32:33], v[4:5]
	s_and_saveexec_b64 s[76:77], vcc
	s_cbranch_execz .LBB16_822
; %bb.811:                              ;   in Loop: Header=BB16_807 Depth=2
	v_and_b32_e32 v0, 64, v56
	s_mov_b32 s49, 0
	v_cmp_eq_u32_e32 vcc, 0, v0
	s_mov_b64 s[78:79], 0
                                        ; implicit-def: $sgpr88_sgpr89
                                        ; implicit-def: $sgpr90_sgpr91
                                        ; implicit-def: $sgpr92_sgpr93
	s_branch .LBB16_815
.LBB16_812:                             ;   in Loop: Header=BB16_815 Depth=3
	s_waitcnt vmcnt(0) lgkmcnt(0)
	v_cmp_ge_u64_e64 s[26:27], v[32:33], v[4:5]
	s_or_b64 s[34:35], s[34:35], exec
	s_orn2_b64 s[30:31], s[26:27], exec
.LBB16_813:                             ;   in Loop: Header=BB16_815 Depth=3
	s_or_b64 exec, exec, s[38:39]
	s_andn2_b64 s[26:27], s[92:93], exec
	s_and_b64 s[92:93], s[34:35], exec
	s_or_b64 s[92:93], s[26:27], s[92:93]
	s_andn2_b64 s[26:27], s[90:91], exec
	s_and_b64 s[90:91], s[30:31], exec
	s_or_b64 s[90:91], s[26:27], s[90:91]
.LBB16_814:                             ;   in Loop: Header=BB16_815 Depth=3
	s_or_b64 exec, exec, s[94:95]
	s_and_b64 s[26:27], exec, s[90:91]
	s_or_b64 s[78:79], s[26:27], s[78:79]
	s_andn2_b64 s[26:27], s[88:89], exec
	s_and_b64 s[88:89], s[92:93], exec
	s_or_b64 s[88:89], s[26:27], s[88:89]
	s_andn2_b64 exec, exec, s[78:79]
	s_cbranch_execz .LBB16_819
.LBB16_815:                             ;   Parent Loop BB16_73 Depth=1
                                        ;     Parent Loop BB16_807 Depth=2
                                        ; =>    This Inner Loop Header: Depth=3
	s_sleep 1
	s_waitcnt vmcnt(0) lgkmcnt(0)
	flat_load_dwordx2 v[32:33], v[24:25] glc
	s_or_b64 s[92:93], s[92:93], exec
	s_or_b64 s[90:91], s[90:91], exec
                                        ; implicit-def: $vgpr0
	s_and_saveexec_b64 s[94:95], vcc
	s_cbranch_execz .LBB16_814
; %bb.816:                              ;   in Loop: Header=BB16_815 Depth=3
	s_cmpk_lt_i32 s49, 0x270f
	s_cselect_b64 s[36:37], -1, 0
	s_cmpk_gt_i32 s49, 0x270e
	s_mov_b64 s[30:31], -1
	s_cbranch_scc0 .LBB16_818
; %bb.817:                              ;   in Loop: Header=BB16_815 Depth=3
	s_trap 2
	ds_read_b64 v[0:1], v0
	s_andn2_b64 s[36:37], s[36:37], exec
	s_mov_b32 s49, 0
	s_mov_b64 s[34:35], 0
	s_waitcnt vmcnt(0) lgkmcnt(0)
	flat_load_dword v0, v[0:1] glc
	s_waitcnt vmcnt(0) lgkmcnt(0)
	buffer_wbinvl1_vol
	v_cmp_eq_u32_e64 s[26:27], 0, v0
	s_and_b64 s[26:27], s[26:27], exec
	s_or_b64 s[36:37], s[36:37], s[26:27]
	s_and_saveexec_b64 s[38:39], s[36:37]
	s_cbranch_execz .LBB16_813
	s_branch .LBB16_812
.LBB16_818:                             ;   in Loop: Header=BB16_815 Depth=3
	s_add_i32 s49, s49, 1
	s_mov_b64 s[34:35], -1
                                        ; implicit-def: $vgpr0
	s_and_saveexec_b64 s[38:39], s[36:37]
	s_cbranch_execz .LBB16_813
	s_branch .LBB16_812
.LBB16_819:                             ;   in Loop: Header=BB16_807 Depth=2
	s_or_b64 exec, exec, s[78:79]
	s_xor_b64 s[26:27], s[88:89], -1
	s_and_saveexec_b64 s[78:79], s[26:27]
	s_xor_b64 s[26:27], exec, s[78:79]
	s_cbranch_execz .LBB16_821
; %bb.820:                              ;   in Loop: Header=BB16_807 Depth=2
	v_or_b32_e32 v56, 64, v56
	s_waitcnt lgkmcnt(0)
	ds_write_b32 v0, v0
	s_trap 2
.LBB16_821:                             ;   in Loop: Header=BB16_807 Depth=2
	s_or_b64 exec, exec, s[26:27]
.LBB16_822:                             ;   in Loop: Header=BB16_807 Depth=2
	s_or_b64 exec, exec, s[76:77]
	v_and_b32_e32 v0, 0x100, v56
	v_cmp_ne_u32_e32 vcc, 0, v0
	v_and_b32_e32 v0, 7, v48
	s_mov_b64 s[26:27], -1
	;;#ASMSTART
	s_wakeup
	;;#ASMEND
                                        ; implicit-def: $vgpr48_vgpr49
	s_and_saveexec_b64 s[76:77], vcc
	s_cbranch_execz .LBB16_826
; %bb.823:                              ;   in Loop: Header=BB16_807 Depth=2
	v_mad_u64_u32 v[50:51], s[26:27], v0, 24, v[26:27]
                                        ; implicit-def: $vgpr48_vgpr49
	flat_load_dword v1, v[50:51]
	s_waitcnt vmcnt(0) lgkmcnt(0)
	v_cmp_ne_u32_e32 vcc, 1, v1
	v_cmp_eq_u32_e64 s[26:27], 1, v1
	s_and_saveexec_b64 s[78:79], s[26:27]
	s_cbranch_execz .LBB16_825
; %bb.824:                              ;   in Loop: Header=BB16_807 Depth=2
	flat_load_dword v48, v[50:51] offset:4 glc
	s_waitcnt vmcnt(0) lgkmcnt(0)
	v_ashrrev_i32_e32 v49, 31, v48
.LBB16_825:                             ;   in Loop: Header=BB16_807 Depth=2
	s_or_b64 exec, exec, s[78:79]
	buffer_load_dword v51, off, s[0:3], s33 offset:100 ; 4-byte Folded Reload
	s_orn2_b64 s[26:27], vcc, exec
	v_mov_b32_e32 v39, 0xd0
	v_mov_b32_e32 v50, 0x88
.LBB16_826:                             ;   in Loop: Header=BB16_807 Depth=2
	s_or_b64 exec, exec, s[76:77]
	s_and_saveexec_b64 s[76:77], s[26:27]
	s_cbranch_execz .LBB16_828
; %bb.827:                              ;   in Loop: Header=BB16_807 Depth=2
	buffer_load_dword v1, off, s[0:3], s33 offset:68 ; 4-byte Folded Reload
	s_waitcnt vmcnt(0)
	v_mad_i64_i32 v[48:49], s[26:27], v0, v1, 0
.LBB16_828:                             ;   in Loop: Header=BB16_807 Depth=2
	s_or_b64 exec, exec, s[76:77]
	v_add_co_u32_e32 v0, vcc, v60, v48
	v_addc_co_u32_e32 v1, vcc, v61, v49, vcc
	ds_write_b64 v0, v[0:1] offset:720
	v_and_b32_e32 v0, 0x2000, v56
	v_cmp_ne_u32_e32 vcc, 0, v0
	s_and_saveexec_b64 s[26:27], vcc
	s_cbranch_execz .LBB16_830
; %bb.829:                              ;   in Loop: Header=BB16_807 Depth=2
	ds_read_b64 v[0:1], v0 offset:872
	s_waitcnt lgkmcnt(0)
	v_add_co_u32_e32 v0, vcc, 1, v0
	v_addc_co_u32_e32 v1, vcc, 0, v1, vcc
	ds_write_b64 v0, v[0:1] offset:872
.LBB16_830:                             ;   in Loop: Header=BB16_807 Depth=2
	s_or_b64 exec, exec, s[26:27]
	v_mov_b32_e32 v49, v5
	v_mov_b32_e32 v48, v4
.LBB16_831:                             ;   in Loop: Header=BB16_807 Depth=2
	s_or_b64 exec, exec, s[74:75]
	s_and_saveexec_b64 s[26:27], s[12:13]
	s_cbranch_execz .LBB16_850
; %bb.832:                              ;   in Loop: Header=BB16_807 Depth=2
	s_and_saveexec_b64 s[74:75], s[58:59]
	s_xor_b64 s[74:75], exec, s[74:75]
	s_cbranch_execz .LBB16_847
; %bb.833:                              ;   in Loop: Header=BB16_807 Depth=2
	s_and_saveexec_b64 s[76:77], s[6:7]
	s_cbranch_execz .LBB16_846
; %bb.834:                              ;   in Loop: Header=BB16_807 Depth=2
	s_mov_b64 s[88:89], exec
	v_mbcnt_lo_u32_b32 v0, s88, 0
	v_mbcnt_hi_u32_b32 v0, s89, v0
	v_cmp_eq_u32_e32 vcc, 0, v0
	s_waitcnt vmcnt(0) lgkmcnt(0)
	buffer_wbinvl1_vol
	s_and_saveexec_b64 s[78:79], vcc
	s_cbranch_execz .LBB16_836
; %bb.835:                              ;   in Loop: Header=BB16_807 Depth=2
	s_bcnt1_i32_b64 s88, s[88:89]
	v_mov_b32_e32 v17, s88
	ds_add_u64 v0, v[17:18]
	s_trap 2
.LBB16_836:                             ;   in Loop: Header=BB16_807 Depth=2
	s_or_b64 exec, exec, s[78:79]
	s_trap 2
	ds_read_b64 v[0:1], v0
	s_waitcnt lgkmcnt(0)
	v_add_co_u32_e32 v28, vcc, v28, v62
	v_addc_co_u32_e32 v29, vcc, 0, v29, vcc
	v_cmp_lt_u64_e32 vcc, v[0:1], v[28:29]
	s_and_saveexec_b64 s[78:79], vcc
	s_cbranch_execz .LBB16_845
; %bb.837:                              ;   in Loop: Header=BB16_807 Depth=2
	s_mov_b32 s34, 0
	s_mov_b64 s[88:89], 0
                                        ; implicit-def: $sgpr90_sgpr91
                                        ; implicit-def: $sgpr92_sgpr93
	s_branch .LBB16_839
.LBB16_838:                             ;   in Loop: Header=BB16_839 Depth=3
	s_or_b64 exec, exec, s[30:31]
	s_and_b64 s[94:95], exec, vcc
	s_or_b64 s[88:89], s[94:95], s[88:89]
	s_andn2_b64 s[90:91], s[90:91], exec
	s_and_b64 s[94:95], s[92:93], exec
	s_or_b64 s[90:91], s[90:91], s[94:95]
	s_andn2_b64 exec, exec, s[88:89]
	s_cbranch_execz .LBB16_843
.LBB16_839:                             ;   Parent Loop BB16_73 Depth=1
                                        ;     Parent Loop BB16_807 Depth=2
                                        ; =>    This Inner Loop Header: Depth=3
	s_add_i32 s34, s34, 1
	s_cmpk_lg_i32 s34, 0x2710
	s_cselect_b64 s[94:95], -1, 0
	s_and_b64 vcc, exec, s[94:95]
	s_cbranch_vccz .LBB16_841
; %bb.840:                              ;   in Loop: Header=BB16_839 Depth=3
	s_mov_b64 vcc, -1
	s_or_b64 s[92:93], s[92:93], exec
	s_and_saveexec_b64 s[30:31], s[94:95]
	s_cbranch_execz .LBB16_838
	s_branch .LBB16_842
.LBB16_841:                             ;   in Loop: Header=BB16_839 Depth=3
	s_trap 2
	ds_read_b64 v[0:1], v0
	s_andn2_b64 s[94:95], s[94:95], exec
	s_mov_b32 s34, 0
	s_waitcnt lgkmcnt(0)
	flat_load_dword v0, v[0:1] glc
	s_waitcnt vmcnt(0) lgkmcnt(0)
	buffer_wbinvl1_vol
	v_cmp_eq_u32_e32 vcc, 0, v0
	s_and_b64 vcc, vcc, exec
	s_or_b64 s[94:95], s[94:95], vcc
	s_mov_b64 vcc, -1
	s_or_b64 s[92:93], s[92:93], exec
	s_and_saveexec_b64 s[30:31], s[94:95]
	s_cbranch_execz .LBB16_838
.LBB16_842:                             ;   in Loop: Header=BB16_839 Depth=3
	s_sleep 1
	s_trap 2
	ds_read_b64 v[0:1], v0
	s_waitcnt lgkmcnt(0)
	s_andn2_b64 s[92:93], s[92:93], exec
	v_cmp_ge_u64_e32 vcc, v[0:1], v[28:29]
	s_orn2_b64 vcc, vcc, exec
	s_branch .LBB16_838
.LBB16_843:                             ;   in Loop: Header=BB16_807 Depth=2
	s_or_b64 exec, exec, s[88:89]
	s_and_saveexec_b64 s[88:89], s[90:91]
	s_xor_b64 s[88:89], exec, s[88:89]
	s_cbranch_execz .LBB16_845
; %bb.844:                              ;   in Loop: Header=BB16_807 Depth=2
	ds_write_b32 v0, v13
	s_trap 2
.LBB16_845:                             ;   in Loop: Header=BB16_807 Depth=2
	s_or_b64 exec, exec, s[78:79]
	;;#ASMSTART
	s_wakeup
	;;#ASMEND
.LBB16_846:                             ;   in Loop: Header=BB16_807 Depth=2
	s_or_b64 exec, exec, s[76:77]
.LBB16_847:                             ;   in Loop: Header=BB16_807 Depth=2
	s_andn2_saveexec_b64 s[74:75], s[74:75]
	s_cbranch_execz .LBB16_849
; %bb.848:                              ;   in Loop: Header=BB16_807 Depth=2
	s_waitcnt vmcnt(0) lgkmcnt(0)
	buffer_wbinvl1_vol
	s_barrier
.LBB16_849:                             ;   in Loop: Header=BB16_807 Depth=2
	s_or_b64 exec, exec, s[74:75]
.LBB16_850:                             ;   in Loop: Header=BB16_807 Depth=2
	s_or_b64 exec, exec, s[26:27]
	s_trap 2
	ds_read_b32 v0, v0
	v_and_b32_e32 v1, 0x4000, v56
	v_cmp_ne_u32_e32 vcc, 0, v1
	s_xor_b64 s[26:27], s[10:11], -1
	s_and_b64 s[74:75], s[26:27], vcc
	s_and_saveexec_b64 s[26:27], s[74:75]
	s_cbranch_execz .LBB16_869
; %bb.851:                              ;   in Loop: Header=BB16_807 Depth=2
	s_and_saveexec_b64 s[74:75], s[58:59]
	s_xor_b64 s[74:75], exec, s[74:75]
	s_cbranch_execz .LBB16_866
; %bb.852:                              ;   in Loop: Header=BB16_807 Depth=2
	s_and_saveexec_b64 s[76:77], s[6:7]
	s_cbranch_execz .LBB16_865
; %bb.853:                              ;   in Loop: Header=BB16_807 Depth=2
	s_mov_b64 s[88:89], exec
	v_mbcnt_lo_u32_b32 v1, s88, 0
	v_mbcnt_hi_u32_b32 v1, s89, v1
	v_cmp_eq_u32_e32 vcc, 0, v1
	s_waitcnt vmcnt(0) lgkmcnt(0)
	buffer_wbinvl1_vol
	s_and_saveexec_b64 s[78:79], vcc
	s_cbranch_execz .LBB16_855
; %bb.854:                              ;   in Loop: Header=BB16_807 Depth=2
	s_bcnt1_i32_b64 s88, s[88:89]
	v_mov_b32_e32 v17, s88
	ds_add_u64 v0, v[17:18]
	s_trap 2
.LBB16_855:                             ;   in Loop: Header=BB16_807 Depth=2
	s_or_b64 exec, exec, s[78:79]
	s_trap 2
	ds_read_b64 v[4:5], v0
	s_waitcnt lgkmcnt(0)
	v_add_co_u32_e32 v28, vcc, v28, v62
	v_addc_co_u32_e32 v29, vcc, 0, v29, vcc
	v_cmp_lt_u64_e32 vcc, v[4:5], v[28:29]
	s_and_saveexec_b64 s[78:79], vcc
	s_cbranch_execz .LBB16_864
; %bb.856:                              ;   in Loop: Header=BB16_807 Depth=2
	s_mov_b32 s34, 0
	s_mov_b64 s[88:89], 0
                                        ; implicit-def: $sgpr90_sgpr91
                                        ; implicit-def: $sgpr92_sgpr93
	s_branch .LBB16_858
.LBB16_857:                             ;   in Loop: Header=BB16_858 Depth=3
	s_or_b64 exec, exec, s[30:31]
	s_and_b64 s[94:95], exec, vcc
	s_or_b64 s[88:89], s[94:95], s[88:89]
	s_andn2_b64 s[90:91], s[90:91], exec
	s_and_b64 s[94:95], s[92:93], exec
	s_or_b64 s[90:91], s[90:91], s[94:95]
	s_andn2_b64 exec, exec, s[88:89]
	s_cbranch_execz .LBB16_862
.LBB16_858:                             ;   Parent Loop BB16_73 Depth=1
                                        ;     Parent Loop BB16_807 Depth=2
                                        ; =>    This Inner Loop Header: Depth=3
	s_add_i32 s34, s34, 1
	s_cmpk_lg_i32 s34, 0x2710
	s_cselect_b64 s[94:95], -1, 0
	s_and_b64 vcc, exec, s[94:95]
	s_cbranch_vccz .LBB16_860
; %bb.859:                              ;   in Loop: Header=BB16_858 Depth=3
	s_mov_b64 vcc, -1
	s_or_b64 s[92:93], s[92:93], exec
	s_and_saveexec_b64 s[30:31], s[94:95]
	s_cbranch_execz .LBB16_857
	s_branch .LBB16_861
.LBB16_860:                             ;   in Loop: Header=BB16_858 Depth=3
	s_trap 2
	ds_read_b64 v[4:5], v0
	s_andn2_b64 s[94:95], s[94:95], exec
	s_mov_b32 s34, 0
	s_waitcnt lgkmcnt(0)
	flat_load_dword v1, v[4:5] glc
	s_waitcnt vmcnt(0) lgkmcnt(0)
	buffer_wbinvl1_vol
	v_cmp_eq_u32_e32 vcc, 0, v1
	s_and_b64 vcc, vcc, exec
	s_or_b64 s[94:95], s[94:95], vcc
	s_mov_b64 vcc, -1
	s_or_b64 s[92:93], s[92:93], exec
	s_and_saveexec_b64 s[30:31], s[94:95]
	s_cbranch_execz .LBB16_857
.LBB16_861:                             ;   in Loop: Header=BB16_858 Depth=3
	s_sleep 1
	s_trap 2
	ds_read_b64 v[4:5], v0
	s_waitcnt lgkmcnt(0)
	s_andn2_b64 s[92:93], s[92:93], exec
	v_cmp_ge_u64_e32 vcc, v[4:5], v[28:29]
	s_orn2_b64 vcc, vcc, exec
	s_branch .LBB16_857
.LBB16_862:                             ;   in Loop: Header=BB16_807 Depth=2
	s_or_b64 exec, exec, s[88:89]
	s_and_saveexec_b64 s[88:89], s[90:91]
	s_xor_b64 s[88:89], exec, s[88:89]
	s_cbranch_execz .LBB16_864
; %bb.863:                              ;   in Loop: Header=BB16_807 Depth=2
	ds_write_b32 v0, v13
	s_trap 2
.LBB16_864:                             ;   in Loop: Header=BB16_807 Depth=2
	s_or_b64 exec, exec, s[78:79]
	;;#ASMSTART
	s_wakeup
	;;#ASMEND
.LBB16_865:                             ;   in Loop: Header=BB16_807 Depth=2
	s_or_b64 exec, exec, s[76:77]
.LBB16_866:                             ;   in Loop: Header=BB16_807 Depth=2
	s_andn2_saveexec_b64 s[74:75], s[74:75]
	s_cbranch_execz .LBB16_868
; %bb.867:                              ;   in Loop: Header=BB16_807 Depth=2
	s_waitcnt vmcnt(0) lgkmcnt(0)
	buffer_wbinvl1_vol
	s_barrier
.LBB16_868:                             ;   in Loop: Header=BB16_807 Depth=2
	s_or_b64 exec, exec, s[74:75]
.LBB16_869:                             ;   in Loop: Header=BB16_807 Depth=2
	s_or_b64 exec, exec, s[26:27]
	s_trap 2
	s_waitcnt lgkmcnt(0)
	ds_read_b64 v[4:5], v0
	v_sub_u32_e32 v1, v10, v40
	v_min_i32_e32 v54, v54, v1
	s_waitcnt lgkmcnt(0)
	v_cmp_eq_u64_e32 vcc, 0, v[4:5]
	s_cbranch_vccnz .LBB16_877
; %bb.870:                              ;   in Loop: Header=BB16_807 Depth=2
	s_trap 2
	s_waitcnt vmcnt(0)
	ds_read_b64 v[50:51], v0
	s_waitcnt lgkmcnt(0)
	v_cmp_eq_u64_e32 vcc, 0, v[50:51]
	s_cbranch_vccnz .LBB16_882
; %bb.871:                              ;   in Loop: Header=BB16_807 Depth=2
	s_mov_b64 s[26:27], -1
	s_and_saveexec_b64 s[74:75], s[24:25]
	s_cbranch_execz .LBB16_873
; %bb.872:                              ;   in Loop: Header=BB16_807 Depth=2
	ds_read_b32 v1, v0 offset:720
	s_waitcnt lgkmcnt(0)
	v_and_b32_e32 v1, 15, v1
	v_cmp_eq_u32_e32 vcc, 0, v1
	s_orn2_b64 s[26:27], vcc, exec
.LBB16_873:                             ;   in Loop: Header=BB16_807 Depth=2
	s_or_b64 exec, exec, s[74:75]
	s_and_saveexec_b64 s[74:75], s[14:15]
	s_cbranch_execz .LBB16_875
; %bb.874:                              ;   in Loop: Header=BB16_807 Depth=2
	ds_read_b32 v1, v0 offset:784
	s_waitcnt lgkmcnt(0)
	v_and_b32_e32 v1, 15, v1
	v_cmp_eq_u32_e32 vcc, 0, v1
	s_and_b64 s[76:77], s[26:27], vcc
	s_andn2_b64 s[26:27], s[26:27], exec
	s_and_b64 s[76:77], s[76:77], exec
	s_or_b64 s[26:27], s[26:27], s[76:77]
.LBB16_875:                             ;   in Loop: Header=BB16_807 Depth=2
	s_or_b64 exec, exec, s[74:75]
	v_cmp_eq_u32_e32 vcc, 0, v0
	s_xor_b64 s[26:27], s[26:27], -1
	v_cndmask_b32_e32 v0, 0, v54, vcc
	v_cndmask_b32_e64 v1, 0, 1, s[26:27]
	s_mov_b64 s[76:77], -1
	v_cmp_ne_u32_e32 vcc, 0, v1
	v_mov_b32_e32 v1, 0
	v_mov_b32_e32 v6, v0
	;; [unrolled: 1-line block ×4, first 2 shown]
	s_cbranch_vccz .LBB16_883
; %bb.876:                              ;   in Loop: Header=BB16_807 Depth=2
	s_and_saveexec_b64 s[26:27], s[76:77]
	s_cbranch_execnz .LBB16_896
	s_branch .LBB16_904
.LBB16_877:                             ;   in Loop: Header=BB16_807 Depth=2
	s_mov_b64 s[26:27], 0
	s_and_saveexec_b64 s[74:75], s[12:13]
	s_cbranch_execnz .LBB16_905
.LBB16_878:                             ;   in Loop: Header=BB16_807 Depth=2
	s_or_b64 exec, exec, s[74:75]
	s_and_saveexec_b64 s[74:75], s[18:19]
	s_xor_b64 s[74:75], exec, s[74:75]
	s_cbranch_execz .LBB16_923
.LBB16_879:                             ;   in Loop: Header=BB16_807 Depth=2
	v_and_b32_e32 v0, 16, v56
	v_cmp_ne_u32_e32 vcc, 0, v0
	s_and_b64 s[76:77], vcc, s[26:27]
	s_and_saveexec_b64 s[26:27], s[76:77]
	s_cbranch_execz .LBB16_881
; %bb.880:                              ;   in Loop: Header=BB16_807 Depth=2
	s_waitcnt vmcnt(0) lgkmcnt(0)
	buffer_wbinvl1_vol
.LBB16_881:                             ;   in Loop: Header=BB16_807 Depth=2
	s_or_b64 exec, exec, s[26:27]
	s_andn2_saveexec_b64 s[26:27], s[74:75]
	s_cbranch_execz .LBB16_942
	s_branch .LBB16_924
.LBB16_882:                             ;   in Loop: Header=BB16_807 Depth=2
	buffer_load_dword v51, off, s[0:3], s33 offset:100 ; 4-byte Folded Reload
	s_mov_b64 s[26:27], 0
	v_mov_b32_e32 v39, 0xd0
	v_mov_b32_e32 v50, 0x88
	s_and_saveexec_b64 s[74:75], s[12:13]
	s_cbranch_execnz .LBB16_905
	s_branch .LBB16_878
.LBB16_883:                             ;   in Loop: Header=BB16_807 Depth=2
	v_ashrrev_i32_e32 v1, 31, v0
	v_lshrrev_b32_e32 v1, 19, v1
	v_add_u32_e32 v1, v0, v1
	v_ashrrev_i32_e32 v1, 13, v1
	v_sub_u32_e32 v8, v1, v38
	v_cmp_lt_i32_e32 vcc, 0, v8
	s_and_saveexec_b64 s[74:75], vcc
	s_cbranch_execz .LBB16_887
; %bb.884:                              ;   in Loop: Header=BB16_807 Depth=2
	v_mov_b32_e32 v39, v54
	buffer_store_dword v48, off, s[0:3], s33 offset:60 ; 4-byte Folded Spill
	s_nop 0
	buffer_store_dword v49, off, s[0:3], s33 offset:64 ; 4-byte Folded Spill
	v_mov_b32_e32 v23, v18
	v_mov_b32_e32 v17, v28
	;; [unrolled: 1-line block ×6, first 2 shown]
	s_mov_b64 s[76:77], 0
	v_mov_b32_e32 v49, v21
	v_mov_b32_e32 v2, v34
	;; [unrolled: 1-line block ×4, first 2 shown]
.LBB16_885:                             ;   Parent Loop BB16_73 Depth=1
                                        ;     Parent Loop BB16_807 Depth=2
                                        ; =>    This Inner Loop Header: Depth=3
	v_add_co_u32_e32 v6, vcc, v49, v54
	v_addc_co_u32_e32 v7, vcc, v2, v55, vcc
	global_load_dwordx4 v[9:12], v[6:7], off glc slc
	global_load_dwordx4 v[13:16], v[6:7], off offset:1024 glc slc
	global_load_dwordx4 v[19:22], v[6:7], off offset:2048 glc slc
	;; [unrolled: 1-line block ×3, first 2 shown]
	v_add_co_u32_e32 v6, vcc, s65, v6
	v_addc_co_u32_e32 v7, vcc, 0, v7, vcc
	global_load_dwordx4 v[34:37], v[6:7], off glc slc
	global_load_dwordx4 v[41:44], v[6:7], off offset:1024 glc slc
	global_load_dwordx4 v[45:48], v[6:7], off offset:2048 glc slc
	;; [unrolled: 1-line block ×3, first 2 shown]
	v_add_co_u32_e32 v6, vcc, v49, v52
	v_addc_co_u32_e32 v7, vcc, v2, v53, vcc
	v_add_co_u32_e32 v54, vcc, v54, v3
	v_addc_co_u32_e32 v55, vcc, 0, v55, vcc
	v_sub_u32_e32 v8, v8, v62
	v_add_co_u32_e32 v52, vcc, v52, v3
	v_addc_co_u32_e32 v53, vcc, 0, v53, vcc
	v_cmp_gt_i32_e64 s[26:27], 1, v8
	v_add_co_u32_e32 v30, vcc, s65, v6
	s_or_b64 s[76:77], s[26:27], s[76:77]
	v_addc_co_u32_e32 v31, vcc, 0, v7, vcc
	s_waitcnt vmcnt(7)
	global_store_dwordx4 v[6:7], v[9:12], off glc slc
	s_waitcnt vmcnt(7)
	global_store_dwordx4 v[6:7], v[13:16], off offset:1024 glc slc
	s_waitcnt vmcnt(7)
	global_store_dwordx4 v[6:7], v[19:22], off offset:2048 glc slc
	;; [unrolled: 2-line block ×3, first 2 shown]
	s_waitcnt vmcnt(7)
	global_store_dwordx4 v[30:31], v[34:37], off glc slc
	s_waitcnt vmcnt(7)
	global_store_dwordx4 v[30:31], v[41:44], off offset:1024 glc slc
	s_waitcnt vmcnt(7)
	global_store_dwordx4 v[30:31], v[45:48], off offset:2048 glc slc
	;; [unrolled: 2-line block ×3, first 2 shown]
	s_andn2_b64 exec, exec, s[76:77]
	s_cbranch_execnz .LBB16_885
; %bb.886:                              ;   in Loop: Header=BB16_807 Depth=2
	s_or_b64 exec, exec, s[76:77]
	buffer_load_dword v26, off, s[0:3], s33 offset:108 ; 4-byte Folded Reload
	buffer_load_dword v27, off, s[0:3], s33 offset:112 ; 4-byte Folded Reload
	;; [unrolled: 1-line block ×14, first 2 shown]
	s_waitcnt vmcnt(10)
	v_mov_b32_e32 v29, v18
	v_mov_b32_e32 v28, v17
	;; [unrolled: 1-line block ×6, first 2 shown]
	buffer_load_dword v23, off, s[0:3], s33 offset:144 ; 4-byte Folded Reload
	buffer_load_dword v48, off, s[0:3], s33 offset:60 ; 4-byte Folded Reload
	;; [unrolled: 1-line block ×5, first 2 shown]
	v_lshlrev_b32_e32 v36, 10, v62
	v_mov_b32_e32 v13, 1
	v_mov_b32_e32 v54, v39
.LBB16_887:                             ;   in Loop: Header=BB16_807 Depth=2
	s_or_b64 exec, exec, s[74:75]
	v_lshlrev_b32_e32 v9, 13, v1
	v_cmp_ne_u32_e32 vcc, v0, v9
	s_mov_b64 s[76:77], 0
	v_mov_b32_e32 v1, 0
                                        ; implicit-def: $vgpr6
                                        ; implicit-def: $vgpr7
                                        ; implicit-def: $vgpr11
	s_and_saveexec_b64 s[74:75], vcc
	s_cbranch_execz .LBB16_895
; %bb.888:                              ;   in Loop: Header=BB16_807 Depth=2
	buffer_load_dword v6, off, s[0:3], s33 offset:168 ; 4-byte Folded Reload
	v_lshlrev_b32_e32 v1, 6, v8
	v_sub_u32_e32 v7, v0, v9
	v_ashrrev_i32_e32 v10, 31, v7
	v_lshrrev_b32_e32 v10, 22, v10
	v_add_u32_e32 v10, v7, v10
	s_waitcnt vmcnt(6)
	v_ashrrev_i32_e32 v12, 10, v10
	v_and_b32_e32 v10, 0xfffffc00, v10
	v_sub_u32_e32 v13, v7, v10
	v_cmp_lt_i32_e32 vcc, 15, v13
	s_waitcnt vmcnt(0)
	v_sub_u32_e32 v1, v6, v1
	v_ashrrev_i32_e32 v6, 31, v1
	v_lshrrev_b32_e32 v6, 26, v6
	v_add_u32_e32 v6, v1, v6
	v_ashrrev_i32_e32 v11, 6, v6
	v_and_b32_e32 v6, 0xffffffc0, v6
	v_sub_u32_e32 v8, v1, v6
	v_lshlrev_b32_e32 v1, 4, v8
	v_lshl_add_u32 v6, v11, 10, v1
	v_sub_u32_e32 v1, v7, v6
	v_addc_co_u32_e64 v7, s[26:27], 0, v12, vcc
	v_sub_u32_e32 v12, v7, v11
	v_cmp_lt_i32_e64 s[26:27], 15, v1
	s_and_saveexec_b64 s[76:77], s[26:27]
	s_cbranch_execz .LBB16_892
; %bb.889:                              ;   in Loop: Header=BB16_807 Depth=2
	buffer_load_dword v11, off, s[0:3], s33 offset:92 ; 4-byte Folded Reload
	v_add_u32_e32 v6, v6, v9
	v_ashrrev_i32_e32 v7, 31, v6
	s_mov_b64 s[78:79], 0
.LBB16_890:                             ;   Parent Loop BB16_73 Depth=1
                                        ;     Parent Loop BB16_807 Depth=2
                                        ; =>    This Inner Loop Header: Depth=3
	v_add_co_u32_e64 v14, s[26:27], v4, v6
	v_addc_co_u32_e64 v15, s[26:27], v5, v7, s[26:27]
	global_load_dwordx4 v[14:17], v[14:15], off glc slc
	v_add_co_u32_e64 v19, s[26:27], v50, v6
	v_addc_co_u32_e64 v20, s[26:27], v51, v7, s[26:27]
	v_add_co_u32_e64 v6, s[26:27], v6, v22
	v_sub_u32_e32 v1, v1, v36
	s_waitcnt vmcnt(1)
	v_addc_co_u32_e64 v7, s[26:27], v7, v11, s[26:27]
	v_cmp_gt_i32_e64 s[26:27], 16, v1
	v_sub_u32_e32 v12, v12, v62
	s_or_b64 s[78:79], s[26:27], s[78:79]
	s_waitcnt vmcnt(0)
	global_store_dwordx4 v[19:20], v[14:17], off glc slc
	s_andn2_b64 exec, exec, s[78:79]
	s_cbranch_execnz .LBB16_890
; %bb.891:                              ;   in Loop: Header=BB16_807 Depth=2
	s_or_b64 exec, exec, s[78:79]
	buffer_load_dword v19, off, s[0:3], s33 offset:88 ; 4-byte Folded Reload
	buffer_load_dword v15, off, s[0:3], s33 offset:84 ; 4-byte Folded Reload
	;; [unrolled: 1-line block ×3, first 2 shown]
.LBB16_892:                             ;   in Loop: Header=BB16_807 Depth=2
	s_or_b64 exec, exec, s[76:77]
	v_and_b32_e32 v16, 15, v0
	v_cndmask_b32_e32 v6, v13, v16, vcc
	v_mov_b32_e32 v1, 0
	v_cmp_ne_u32_e64 s[26:27], 0, v6
	s_mov_b64 s[78:79], 0
                                        ; implicit-def: $vgpr7
                                        ; implicit-def: $vgpr11
	s_and_saveexec_b64 s[76:77], s[26:27]
	s_cbranch_execz .LBB16_894
; %bb.893:                              ;   in Loop: Header=BB16_807 Depth=2
	v_sub_u32_e32 v1, v13, v16
	v_cndmask_b32_e32 v1, 0, v1, vcc
	v_cmp_lt_i32_e32 vcc, 0, v12
	v_cndmask_b32_e32 v7, 0, v62, vcc
	v_sub_u32_e32 v7, v7, v12
	v_lshl_add_u32 v7, v7, 6, v8
	v_ashrrev_i32_e32 v8, 31, v7
	v_lshrrev_b32_e32 v8, 26, v8
	v_add_u32_e32 v8, v7, v8
	v_add3_u32 v1, v10, v9, v1
	v_ashrrev_i32_e32 v11, 6, v8
	s_mov_b64 s[78:79], exec
.LBB16_894:                             ;   in Loop: Header=BB16_807 Depth=2
	s_or_b64 exec, exec, s[76:77]
	buffer_load_dword v16, off, s[0:3], s33 offset:92 ; 4-byte Folded Reload
	buffer_load_dword v12, off, s[0:3], s33 offset:76 ; 4-byte Folded Reload
	s_and_b64 s[76:77], s[78:79], exec
	v_mov_b32_e32 v13, 1
.LBB16_895:                             ;   in Loop: Header=BB16_807 Depth=2
	s_or_b64 exec, exec, s[74:75]
	s_and_saveexec_b64 s[26:27], s[76:77]
	s_cbranch_execz .LBB16_904
.LBB16_896:                             ;   in Loop: Header=BB16_807 Depth=2
	v_ashrrev_i32_e32 v8, 31, v6
	v_lshrrev_b32_e32 v8, 21, v8
	v_add_u32_e32 v8, v6, v8
	v_ashrrev_i32_e32 v10, 11, v8
	v_sub_u32_e32 v8, v10, v11
	v_ashrrev_i32_e32 v9, 31, v7
	v_cmp_lt_i32_e32 vcc, 0, v8
	v_lshrrev_b32_e32 v9, 26, v9
	s_and_saveexec_b64 s[74:75], vcc
	s_cbranch_execz .LBB16_900
; %bb.897:                              ;   in Loop: Header=BB16_807 Depth=2
	s_waitcnt vmcnt(0)
	v_add_u32_e32 v12, v7, v9
	v_and_b32_e32 v12, 0xffffffc0, v12
	v_sub_u32_e32 v12, v7, v12
	v_lshlrev_b32_e32 v11, 11, v11
	v_mov_b32_e32 v58, v29
	v_add3_u32 v11, v1, v12, v11
	v_mov_b32_e32 v3, v54
	v_mov_b32_e32 v57, v28
	v_ashrrev_i32_e32 v12, 31, v11
	s_mov_b64 s[76:77], 0
	v_mov_b32_e32 v2, v23
	buffer_store_dword v48, off, s[0:3], s33 offset:60 ; 4-byte Folded Spill
	s_nop 0
	buffer_store_dword v49, off, s[0:3], s33 offset:64 ; 4-byte Folded Spill
.LBB16_898:                             ;   Parent Loop BB16_73 Depth=1
                                        ;     Parent Loop BB16_807 Depth=2
                                        ; =>    This Inner Loop Header: Depth=3
	v_add_co_u32_e32 v13, vcc, v11, v4
	v_addc_co_u32_e32 v14, vcc, v12, v5, vcc
	flat_load_ubyte v15, v[13:14] glc slc
	flat_load_ubyte v16, v[13:14] offset:64 glc slc
	flat_load_ubyte v17, v[13:14] offset:128 glc slc
	;; [unrolled: 1-line block ×31, first 2 shown]
	v_add_co_u32_e32 v13, vcc, v11, v50
	v_addc_co_u32_e32 v14, vcc, v12, v51, vcc
	v_add_co_u32_e32 v4, vcc, v4, v2
	v_addc_co_u32_e32 v5, vcc, 0, v5, vcc
	v_add_co_u32_e32 v50, vcc, v50, v2
	v_sub_u32_e32 v8, v8, v62
	v_addc_co_u32_e32 v51, vcc, 0, v51, vcc
	v_cmp_gt_i32_e32 vcc, 1, v8
	s_or_b64 s[76:77], vcc, s[76:77]
	s_waitcnt vmcnt(0) lgkmcnt(0)
	flat_store_byte v[13:14], v15 glc slc
	flat_store_byte v[13:14], v16 offset:64 glc slc
	flat_store_byte v[13:14], v17 offset:128 glc slc
	;; [unrolled: 1-line block ×31, first 2 shown]
	s_andn2_b64 exec, exec, s[76:77]
	s_cbranch_execnz .LBB16_898
; %bb.899:                              ;   in Loop: Header=BB16_807 Depth=2
	s_or_b64 exec, exec, s[76:77]
	buffer_load_dword v26, off, s[0:3], s33 offset:108 ; 4-byte Folded Reload
	buffer_load_dword v27, off, s[0:3], s33 offset:112 ; 4-byte Folded Reload
	;; [unrolled: 1-line block ×15, first 2 shown]
	v_mov_b32_e32 v23, v2
	buffer_load_dword v48, off, s[0:3], s33 offset:60 ; 4-byte Folded Reload
	buffer_load_dword v49, off, s[0:3], s33 offset:64 ; 4-byte Folded Reload
	v_mov_b32_e32 v54, v3
	buffer_load_dword v2, off, s[0:3], s33 offset:148 ; 4-byte Folded Reload
	buffer_load_dword v3, off, s[0:3], s33 offset:152 ; 4-byte Folded Reload
	s_waitcnt vmcnt(0)
	v_mov_b32_e32 v28, v57
	v_mov_b32_e32 v29, v58
	v_lshlrev_b32_e32 v36, 10, v62
	v_lshlrev_b32_e32 v52, 13, v62
	v_mov_b32_e32 v13, 1
.LBB16_900:                             ;   in Loop: Header=BB16_807 Depth=2
	s_or_b64 exec, exec, s[74:75]
	v_lshlrev_b32_e32 v4, 11, v10
	v_cmp_ne_u32_e32 vcc, v6, v4
	s_and_b64 exec, exec, vcc
	s_cbranch_execz .LBB16_904
; %bb.901:                              ;   in Loop: Header=BB16_807 Depth=2
	v_add_u32_e32 v5, v7, v9
	v_and_b32_e32 v5, 0xffffffc0, v5
	v_sub_u32_e32 v5, v7, v5
	v_lshlrev_b32_e32 v7, 6, v8
	v_sub_u32_e32 v5, v5, v7
	v_add_u32_e32 v4, v4, v5
	v_sub_u32_e32 v6, v6, v4
	v_cmp_lt_i32_e32 vcc, 0, v6
	s_and_b64 exec, exec, vcc
	s_cbranch_execz .LBB16_904
; %bb.902:                              ;   in Loop: Header=BB16_807 Depth=2
	v_add_u32_e32 v1, v4, v1
	s_trap 2
	ds_read_b64 v[4:5], v0
	v_ashrrev_i32_e32 v7, 31, v1
	s_mov_b64 s[74:75], 0
.LBB16_903:                             ;   Parent Loop BB16_73 Depth=1
                                        ;     Parent Loop BB16_807 Depth=2
                                        ; =>    This Inner Loop Header: Depth=3
	s_waitcnt lgkmcnt(0)
	v_add_co_u32_e32 v8, vcc, v4, v1
	v_addc_co_u32_e32 v9, vcc, v5, v7, vcc
	flat_load_ubyte v10, v[8:9] glc slc
	s_waitcnt vmcnt(0)
	v_add_co_u32_e32 v1, vcc, v1, v14
	v_sub_u32_e32 v6, v6, v19
	v_addc_co_u32_e32 v7, vcc, v7, v12, vcc
	v_cmp_gt_i32_e32 vcc, 1, v6
	s_or_b64 s[74:75], vcc, s[74:75]
	s_waitcnt lgkmcnt(0)
	flat_store_byte v[8:9], v10 glc slc
	s_andn2_b64 exec, exec, s[74:75]
	s_cbranch_execnz .LBB16_903
.LBB16_904:                             ;   in Loop: Header=BB16_807 Depth=2
	s_or_b64 exec, exec, s[26:27]
	buffer_load_dword v51, off, s[0:3], s33 offset:100 ; 4-byte Folded Reload
	buffer_load_dword v10, off, s[0:3], s33 offset:72 ; 4-byte Folded Reload
	buffer_load_dword v11, off, s[0:3], s33 offset:156 ; 4-byte Folded Reload
	v_cmp_lt_i32_e64 s[26:27], 0, v0
	v_mov_b32_e32 v39, 0xd0
	v_mov_b32_e32 v50, 0x88
	s_and_saveexec_b64 s[74:75], s[12:13]
	s_cbranch_execz .LBB16_878
.LBB16_905:                             ;   in Loop: Header=BB16_807 Depth=2
	s_and_saveexec_b64 s[76:77], s[58:59]
	s_xor_b64 s[76:77], exec, s[76:77]
	s_cbranch_execz .LBB16_920
; %bb.906:                              ;   in Loop: Header=BB16_807 Depth=2
	s_and_saveexec_b64 s[78:79], s[6:7]
	s_cbranch_execz .LBB16_919
; %bb.907:                              ;   in Loop: Header=BB16_807 Depth=2
	s_mov_b64 s[90:91], exec
	v_mbcnt_lo_u32_b32 v0, s90, 0
	v_mbcnt_hi_u32_b32 v0, s91, v0
	v_cmp_eq_u32_e32 vcc, 0, v0
	s_waitcnt vmcnt(0) lgkmcnt(0)
	buffer_wbinvl1_vol
	s_and_saveexec_b64 s[88:89], vcc
	s_cbranch_execz .LBB16_909
; %bb.908:                              ;   in Loop: Header=BB16_807 Depth=2
	s_bcnt1_i32_b64 s90, s[90:91]
	v_mov_b32_e32 v17, s90
	ds_add_u64 v0, v[17:18]
	s_trap 2
.LBB16_909:                             ;   in Loop: Header=BB16_807 Depth=2
	s_or_b64 exec, exec, s[88:89]
	s_trap 2
	ds_read_b64 v[0:1], v0
	s_waitcnt lgkmcnt(0)
	v_add_co_u32_e32 v28, vcc, v28, v62
	v_addc_co_u32_e32 v29, vcc, 0, v29, vcc
	v_cmp_lt_u64_e32 vcc, v[0:1], v[28:29]
	s_and_saveexec_b64 s[88:89], vcc
	s_cbranch_execz .LBB16_918
; %bb.910:                              ;   in Loop: Header=BB16_807 Depth=2
	s_mov_b32 s36, 0
	s_mov_b64 s[90:91], 0
                                        ; implicit-def: $sgpr92_sgpr93
                                        ; implicit-def: $sgpr94_sgpr95
	s_branch .LBB16_912
.LBB16_911:                             ;   in Loop: Header=BB16_912 Depth=3
	s_or_b64 exec, exec, s[34:35]
	s_and_b64 vcc, exec, vcc
	s_or_b64 s[90:91], vcc, s[90:91]
	s_andn2_b64 s[92:93], s[92:93], exec
	s_and_b64 vcc, s[94:95], exec
	s_or_b64 s[92:93], s[92:93], vcc
	s_andn2_b64 exec, exec, s[90:91]
	s_cbranch_execz .LBB16_916
.LBB16_912:                             ;   Parent Loop BB16_73 Depth=1
                                        ;     Parent Loop BB16_807 Depth=2
                                        ; =>    This Inner Loop Header: Depth=3
	s_add_i32 s36, s36, 1
	s_cmpk_lg_i32 s36, 0x2710
	s_cselect_b64 s[30:31], -1, 0
	s_and_b64 vcc, exec, s[30:31]
	s_cbranch_vccz .LBB16_914
; %bb.913:                              ;   in Loop: Header=BB16_912 Depth=3
	s_mov_b64 vcc, -1
	s_or_b64 s[94:95], s[94:95], exec
	s_and_saveexec_b64 s[34:35], s[30:31]
	s_cbranch_execz .LBB16_911
	s_branch .LBB16_915
.LBB16_914:                             ;   in Loop: Header=BB16_912 Depth=3
	s_trap 2
	ds_read_b64 v[0:1], v0
	s_andn2_b64 s[30:31], s[30:31], exec
	s_mov_b32 s36, 0
	s_waitcnt lgkmcnt(0)
	flat_load_dword v0, v[0:1] glc
	s_waitcnt vmcnt(0) lgkmcnt(0)
	buffer_wbinvl1_vol
	v_cmp_eq_u32_e32 vcc, 0, v0
	s_and_b64 vcc, vcc, exec
	s_or_b64 s[30:31], s[30:31], vcc
	s_mov_b64 vcc, -1
	s_or_b64 s[94:95], s[94:95], exec
	s_and_saveexec_b64 s[34:35], s[30:31]
	s_cbranch_execz .LBB16_911
.LBB16_915:                             ;   in Loop: Header=BB16_912 Depth=3
	s_sleep 1
	s_trap 2
	ds_read_b64 v[0:1], v0
	s_waitcnt lgkmcnt(0)
	s_andn2_b64 s[94:95], s[94:95], exec
	v_cmp_ge_u64_e32 vcc, v[0:1], v[28:29]
	s_orn2_b64 vcc, vcc, exec
	s_branch .LBB16_911
.LBB16_916:                             ;   in Loop: Header=BB16_807 Depth=2
	s_or_b64 exec, exec, s[90:91]
	s_and_saveexec_b64 s[90:91], s[92:93]
	s_xor_b64 s[90:91], exec, s[90:91]
	s_cbranch_execz .LBB16_918
; %bb.917:                              ;   in Loop: Header=BB16_807 Depth=2
	ds_write_b32 v0, v13
	s_trap 2
.LBB16_918:                             ;   in Loop: Header=BB16_807 Depth=2
	s_or_b64 exec, exec, s[88:89]
	;;#ASMSTART
	s_wakeup
	;;#ASMEND
.LBB16_919:                             ;   in Loop: Header=BB16_807 Depth=2
	s_or_b64 exec, exec, s[78:79]
.LBB16_920:                             ;   in Loop: Header=BB16_807 Depth=2
	s_andn2_saveexec_b64 s[76:77], s[76:77]
	s_cbranch_execz .LBB16_922
; %bb.921:                              ;   in Loop: Header=BB16_807 Depth=2
	s_waitcnt vmcnt(0) lgkmcnt(0)
	buffer_wbinvl1_vol
	s_barrier
.LBB16_922:                             ;   in Loop: Header=BB16_807 Depth=2
	s_or_b64 exec, exec, s[76:77]
	s_or_b64 exec, exec, s[74:75]
	s_and_saveexec_b64 s[74:75], s[18:19]
	s_xor_b64 s[74:75], exec, s[74:75]
	s_cbranch_execnz .LBB16_879
.LBB16_923:                             ;   in Loop: Header=BB16_807 Depth=2
	s_andn2_saveexec_b64 s[26:27], s[74:75]
	s_cbranch_execz .LBB16_942
.LBB16_924:                             ;   in Loop: Header=BB16_807 Depth=2
	s_and_saveexec_b64 s[74:75], s[58:59]
	s_xor_b64 s[74:75], exec, s[74:75]
	s_cbranch_execz .LBB16_939
; %bb.925:                              ;   in Loop: Header=BB16_807 Depth=2
	s_and_saveexec_b64 s[76:77], s[6:7]
	s_cbranch_execz .LBB16_938
; %bb.926:                              ;   in Loop: Header=BB16_807 Depth=2
	s_mov_b64 s[88:89], exec
	v_mbcnt_lo_u32_b32 v0, s88, 0
	v_mbcnt_hi_u32_b32 v0, s89, v0
	v_cmp_eq_u32_e32 vcc, 0, v0
	;;#ASMSTART
	s_waitcnt lgkmcnt(0) vmcnt(0)
	;;#ASMEND
	s_and_saveexec_b64 s[78:79], vcc
	s_cbranch_execz .LBB16_928
; %bb.927:                              ;   in Loop: Header=BB16_807 Depth=2
	s_bcnt1_i32_b64 s88, s[88:89]
	v_mov_b32_e32 v17, s88
	s_waitcnt lgkmcnt(0)
	ds_add_u64 v0, v[17:18]
	s_trap 2
.LBB16_928:                             ;   in Loop: Header=BB16_807 Depth=2
	s_or_b64 exec, exec, s[78:79]
	s_trap 2
	ds_read_b64 v[0:1], v0
	s_waitcnt lgkmcnt(0)
	v_add_co_u32_e32 v28, vcc, v28, v62
	v_addc_co_u32_e32 v29, vcc, 0, v29, vcc
	v_cmp_lt_u64_e32 vcc, v[0:1], v[28:29]
	s_and_saveexec_b64 s[78:79], vcc
	s_cbranch_execz .LBB16_937
; %bb.929:                              ;   in Loop: Header=BB16_807 Depth=2
	s_mov_b32 s34, 0
	s_mov_b64 s[88:89], 0
                                        ; implicit-def: $sgpr90_sgpr91
                                        ; implicit-def: $sgpr92_sgpr93
	s_branch .LBB16_931
.LBB16_930:                             ;   in Loop: Header=BB16_931 Depth=3
	s_or_b64 exec, exec, s[30:31]
	s_and_b64 s[94:95], exec, vcc
	s_or_b64 s[88:89], s[94:95], s[88:89]
	s_andn2_b64 s[90:91], s[90:91], exec
	s_and_b64 s[94:95], s[92:93], exec
	s_or_b64 s[90:91], s[90:91], s[94:95]
	s_andn2_b64 exec, exec, s[88:89]
	s_cbranch_execz .LBB16_935
.LBB16_931:                             ;   Parent Loop BB16_73 Depth=1
                                        ;     Parent Loop BB16_807 Depth=2
                                        ; =>    This Inner Loop Header: Depth=3
	s_add_i32 s34, s34, 1
	s_cmpk_lg_i32 s34, 0x2710
	s_cselect_b64 s[94:95], -1, 0
	s_and_b64 vcc, exec, s[94:95]
	s_cbranch_vccz .LBB16_933
; %bb.932:                              ;   in Loop: Header=BB16_931 Depth=3
	s_mov_b64 vcc, -1
	s_or_b64 s[92:93], s[92:93], exec
	s_and_saveexec_b64 s[30:31], s[94:95]
	s_cbranch_execz .LBB16_930
	s_branch .LBB16_934
.LBB16_933:                             ;   in Loop: Header=BB16_931 Depth=3
	s_trap 2
	ds_read_b64 v[0:1], v0
	s_andn2_b64 s[94:95], s[94:95], exec
	s_mov_b32 s34, 0
	s_waitcnt vmcnt(0) lgkmcnt(0)
	flat_load_dword v0, v[0:1] glc
	s_waitcnt vmcnt(0) lgkmcnt(0)
	buffer_wbinvl1_vol
	v_cmp_eq_u32_e32 vcc, 0, v0
	s_and_b64 vcc, vcc, exec
	s_or_b64 s[94:95], s[94:95], vcc
	s_mov_b64 vcc, -1
	s_or_b64 s[92:93], s[92:93], exec
	s_and_saveexec_b64 s[30:31], s[94:95]
	s_cbranch_execz .LBB16_930
.LBB16_934:                             ;   in Loop: Header=BB16_931 Depth=3
	s_sleep 1
	s_trap 2
	ds_read_b64 v[0:1], v0
	s_waitcnt lgkmcnt(0)
	s_andn2_b64 s[92:93], s[92:93], exec
	v_cmp_ge_u64_e32 vcc, v[0:1], v[28:29]
	s_orn2_b64 vcc, vcc, exec
	s_branch .LBB16_930
.LBB16_935:                             ;   in Loop: Header=BB16_807 Depth=2
	s_or_b64 exec, exec, s[88:89]
	s_and_saveexec_b64 s[88:89], s[90:91]
	s_xor_b64 s[88:89], exec, s[88:89]
	s_cbranch_execz .LBB16_937
; %bb.936:                              ;   in Loop: Header=BB16_807 Depth=2
	ds_write_b32 v0, v13
	s_trap 2
.LBB16_937:                             ;   in Loop: Header=BB16_807 Depth=2
	s_or_b64 exec, exec, s[78:79]
	;;#ASMSTART
	s_wakeup
	;;#ASMEND
.LBB16_938:                             ;   in Loop: Header=BB16_807 Depth=2
	s_or_b64 exec, exec, s[76:77]
.LBB16_939:                             ;   in Loop: Header=BB16_807 Depth=2
	s_andn2_saveexec_b64 s[74:75], s[74:75]
	s_cbranch_execz .LBB16_941
; %bb.940:                              ;   in Loop: Header=BB16_807 Depth=2
	;;#ASMSTART
	s_waitcnt lgkmcnt(0) vmcnt(0)
	;;#ASMEND
	s_waitcnt vmcnt(0) lgkmcnt(0)
	s_barrier
.LBB16_941:                             ;   in Loop: Header=BB16_807 Depth=2
	s_or_b64 exec, exec, s[74:75]
.LBB16_942:                             ;   in Loop: Header=BB16_807 Depth=2
	s_or_b64 exec, exec, s[26:27]
	v_and_b32_e32 v0, 32, v56
	v_cmp_ne_u32_e32 vcc, 0, v0
	s_and_saveexec_b64 s[26:27], vcc
	s_cbranch_execz .LBB16_806
; %bb.943:                              ;   in Loop: Header=BB16_807 Depth=2
	s_waitcnt vmcnt(0)
	v_add_co_u32_e32 v48, vcc, 2, v48
	v_addc_co_u32_e32 v49, vcc, 0, v49, vcc
	flat_store_dwordx2 v[24:25], v[48:49]
	s_branch .LBB16_806
.LBB16_944:                             ;   in Loop: Header=BB16_73 Depth=1
	s_or_b64 exec, exec, s[40:41]
.LBB16_945:                             ;   in Loop: Header=BB16_73 Depth=1
	s_or_b64 exec, exec, s[28:29]
	v_cmp_gt_i32_e32 vcc, 2, v0
	s_mov_b64 s[28:29], exec
	buffer_load_dword v6, off, s[0:3], s33 offset:216 ; 4-byte Folded Reload
	buffer_load_dword v7, off, s[0:3], s33 offset:220 ; 4-byte Folded Reload
	s_and_b64 s[26:27], s[28:29], vcc
	s_mov_b64 exec, s[26:27]
	s_cbranch_execz .LBB16_72
; %bb.946:                              ;   in Loop: Header=BB16_73 Depth=1
	v_cmp_eq_u32_e64 s[42:43], 0, v0
	s_mov_b64 s[40:41], 0
	s_branch .LBB16_948
.LBB16_947:                             ;   in Loop: Header=BB16_948 Depth=2
	s_or_b64 exec, exec, s[26:27]
	v_add_u32_e32 v40, v54, v40
	s_mov_b64 s[42:43], 0
	s_andn2_b64 exec, exec, s[40:41]
	s_cbranch_execz .LBB16_71
.LBB16_948:                             ;   Parent Loop BB16_73 Depth=1
                                        ; =>  This Loop Header: Depth=2
                                        ;       Child Loop BB16_954 Depth 3
                                        ;       Child Loop BB16_978 Depth 3
                                        ;       Child Loop BB16_1001 Depth 3
	v_and_b32_e32 v0, 4, v56
	v_cmp_ne_u32_e32 vcc, 0, v0
	s_and_saveexec_b64 s[74:75], vcc
	s_cbranch_execz .LBB16_970
; %bb.949:                              ;   in Loop: Header=BB16_948 Depth=2
	v_add_co_u32_e32 v2, vcc, 2, v48
	v_addc_co_u32_e32 v3, vcc, 0, v49, vcc
	s_waitcnt vmcnt(0) lgkmcnt(0)
	v_cmp_lt_u64_e32 vcc, v[32:33], v[2:3]
	s_and_saveexec_b64 s[76:77], vcc
	s_cbranch_execz .LBB16_961
; %bb.950:                              ;   in Loop: Header=BB16_948 Depth=2
	v_and_b32_e32 v0, 64, v56
	s_mov_b32 s48, 0
	v_cmp_eq_u32_e32 vcc, 0, v0
	s_mov_b64 s[78:79], 0
                                        ; implicit-def: $sgpr88_sgpr89
                                        ; implicit-def: $sgpr90_sgpr91
                                        ; implicit-def: $sgpr92_sgpr93
	s_branch .LBB16_954
.LBB16_951:                             ;   in Loop: Header=BB16_954 Depth=3
	s_waitcnt vmcnt(0) lgkmcnt(0)
	v_cmp_ge_u64_e64 s[26:27], v[32:33], v[2:3]
	s_or_b64 s[34:35], s[34:35], exec
	s_orn2_b64 s[30:31], s[26:27], exec
.LBB16_952:                             ;   in Loop: Header=BB16_954 Depth=3
	s_or_b64 exec, exec, s[38:39]
	s_andn2_b64 s[26:27], s[92:93], exec
	s_and_b64 s[92:93], s[34:35], exec
	s_or_b64 s[92:93], s[26:27], s[92:93]
	s_andn2_b64 s[26:27], s[90:91], exec
	s_and_b64 s[90:91], s[30:31], exec
	s_or_b64 s[90:91], s[26:27], s[90:91]
.LBB16_953:                             ;   in Loop: Header=BB16_954 Depth=3
	s_or_b64 exec, exec, s[94:95]
	s_and_b64 s[26:27], exec, s[90:91]
	s_or_b64 s[78:79], s[26:27], s[78:79]
	s_andn2_b64 s[26:27], s[88:89], exec
	s_and_b64 s[88:89], s[92:93], exec
	s_or_b64 s[88:89], s[26:27], s[88:89]
	s_andn2_b64 exec, exec, s[78:79]
	s_cbranch_execz .LBB16_958
.LBB16_954:                             ;   Parent Loop BB16_73 Depth=1
                                        ;     Parent Loop BB16_948 Depth=2
                                        ; =>    This Inner Loop Header: Depth=3
	s_sleep 1
	s_waitcnt vmcnt(0) lgkmcnt(0)
	flat_load_dwordx2 v[32:33], v[24:25] glc
	s_or_b64 s[92:93], s[92:93], exec
	s_or_b64 s[90:91], s[90:91], exec
                                        ; implicit-def: $vgpr0
	s_and_saveexec_b64 s[94:95], vcc
	s_cbranch_execz .LBB16_953
; %bb.955:                              ;   in Loop: Header=BB16_954 Depth=3
	s_cmpk_lt_i32 s48, 0x270f
	s_cselect_b64 s[36:37], -1, 0
	s_cmpk_gt_i32 s48, 0x270e
	s_mov_b64 s[30:31], -1
	s_cbranch_scc0 .LBB16_957
; %bb.956:                              ;   in Loop: Header=BB16_954 Depth=3
	s_trap 2
	ds_read_b64 v[0:1], v0
	s_andn2_b64 s[36:37], s[36:37], exec
	s_mov_b32 s48, 0
	s_mov_b64 s[34:35], 0
	s_waitcnt vmcnt(0) lgkmcnt(0)
	flat_load_dword v0, v[0:1] glc
	s_waitcnt vmcnt(0) lgkmcnt(0)
	buffer_wbinvl1_vol
	v_cmp_eq_u32_e64 s[26:27], 0, v0
	s_and_b64 s[26:27], s[26:27], exec
	s_or_b64 s[36:37], s[36:37], s[26:27]
	s_and_saveexec_b64 s[38:39], s[36:37]
	s_cbranch_execz .LBB16_952
	s_branch .LBB16_951
.LBB16_957:                             ;   in Loop: Header=BB16_954 Depth=3
	s_add_i32 s48, s48, 1
	s_mov_b64 s[34:35], -1
                                        ; implicit-def: $vgpr0
	s_and_saveexec_b64 s[38:39], s[36:37]
	s_cbranch_execz .LBB16_952
	s_branch .LBB16_951
.LBB16_958:                             ;   in Loop: Header=BB16_948 Depth=2
	s_or_b64 exec, exec, s[78:79]
	s_xor_b64 s[26:27], s[88:89], -1
	s_and_saveexec_b64 s[78:79], s[26:27]
	s_xor_b64 s[26:27], exec, s[78:79]
	s_cbranch_execz .LBB16_960
; %bb.959:                              ;   in Loop: Header=BB16_948 Depth=2
	v_or_b32_e32 v56, 64, v56
	s_waitcnt lgkmcnt(0)
	ds_write_b32 v0, v0
	s_trap 2
.LBB16_960:                             ;   in Loop: Header=BB16_948 Depth=2
	s_or_b64 exec, exec, s[26:27]
.LBB16_961:                             ;   in Loop: Header=BB16_948 Depth=2
	s_or_b64 exec, exec, s[76:77]
	v_and_b32_e32 v0, 0x100, v56
	v_cmp_ne_u32_e32 vcc, 0, v0
	v_and_b32_e32 v0, 7, v48
	s_mov_b64 s[26:27], -1
	;;#ASMSTART
	s_wakeup
	;;#ASMEND
                                        ; implicit-def: $vgpr4_vgpr5
	s_and_saveexec_b64 s[76:77], vcc
	s_cbranch_execz .LBB16_965
; %bb.962:                              ;   in Loop: Header=BB16_948 Depth=2
	v_mad_u64_u32 v[48:49], s[26:27], v0, 24, v[26:27]
                                        ; implicit-def: $vgpr4_vgpr5
	flat_load_dword v1, v[48:49]
	s_waitcnt vmcnt(0) lgkmcnt(0)
	v_cmp_ne_u32_e32 vcc, 1, v1
	v_cmp_eq_u32_e64 s[26:27], 1, v1
	s_and_saveexec_b64 s[78:79], s[26:27]
	s_cbranch_execz .LBB16_964
; %bb.963:                              ;   in Loop: Header=BB16_948 Depth=2
	flat_load_dword v4, v[48:49] offset:4 glc
	s_waitcnt vmcnt(0) lgkmcnt(0)
	v_ashrrev_i32_e32 v5, 31, v4
.LBB16_964:                             ;   in Loop: Header=BB16_948 Depth=2
	s_or_b64 exec, exec, s[78:79]
	s_orn2_b64 s[26:27], vcc, exec
.LBB16_965:                             ;   in Loop: Header=BB16_948 Depth=2
	s_or_b64 exec, exec, s[76:77]
	s_and_saveexec_b64 s[76:77], s[26:27]
	s_cbranch_execz .LBB16_967
; %bb.966:                              ;   in Loop: Header=BB16_948 Depth=2
	buffer_load_dword v1, off, s[0:3], s33 offset:68 ; 4-byte Folded Reload
	s_waitcnt vmcnt(0)
	v_mad_i64_i32 v[4:5], s[26:27], v0, v1, 0
.LBB16_967:                             ;   in Loop: Header=BB16_948 Depth=2
	s_or_b64 exec, exec, s[76:77]
	v_add_co_u32_e32 v0, vcc, v60, v4
	v_addc_co_u32_e32 v1, vcc, v61, v5, vcc
	ds_write_b64 v0, v[0:1] offset:720
	v_and_b32_e32 v0, 0x2000, v56
	v_cmp_ne_u32_e32 vcc, 0, v0
	s_and_saveexec_b64 s[26:27], vcc
	s_cbranch_execz .LBB16_969
; %bb.968:                              ;   in Loop: Header=BB16_948 Depth=2
	ds_read_b64 v[0:1], v0 offset:872
	s_waitcnt lgkmcnt(0)
	v_add_co_u32_e32 v0, vcc, 1, v0
	v_addc_co_u32_e32 v1, vcc, 0, v1, vcc
	ds_write_b64 v0, v[0:1] offset:872
.LBB16_969:                             ;   in Loop: Header=BB16_948 Depth=2
	s_or_b64 exec, exec, s[26:27]
	v_mov_b32_e32 v49, v3
	v_mov_b32_e32 v48, v2
.LBB16_970:                             ;   in Loop: Header=BB16_948 Depth=2
	s_or_b64 exec, exec, s[74:75]
	s_xor_b64 s[26:27], s[42:43], -1
	s_and_b64 s[26:27], exec, s[26:27]
	s_or_b64 s[40:41], s[26:27], s[40:41]
	s_and_saveexec_b64 s[26:27], s[12:13]
	s_cbranch_execz .LBB16_989
; %bb.971:                              ;   in Loop: Header=BB16_948 Depth=2
	s_and_saveexec_b64 s[42:43], s[58:59]
	s_xor_b64 s[42:43], exec, s[42:43]
	s_cbranch_execz .LBB16_986
; %bb.972:                              ;   in Loop: Header=BB16_948 Depth=2
	s_and_saveexec_b64 s[74:75], s[6:7]
	s_cbranch_execz .LBB16_985
; %bb.973:                              ;   in Loop: Header=BB16_948 Depth=2
	s_mov_b64 s[78:79], exec
	v_mbcnt_lo_u32_b32 v0, s78, 0
	v_mbcnt_hi_u32_b32 v0, s79, v0
	v_cmp_eq_u32_e32 vcc, 0, v0
	s_waitcnt vmcnt(0) lgkmcnt(0)
	buffer_wbinvl1_vol
	s_and_saveexec_b64 s[76:77], vcc
	s_cbranch_execz .LBB16_975
; %bb.974:                              ;   in Loop: Header=BB16_948 Depth=2
	s_bcnt1_i32_b64 s78, s[78:79]
	v_mov_b32_e32 v17, s78
	ds_add_u64 v0, v[17:18]
	s_trap 2
.LBB16_975:                             ;   in Loop: Header=BB16_948 Depth=2
	s_or_b64 exec, exec, s[76:77]
	s_trap 2
	ds_read_b64 v[0:1], v0
	s_waitcnt lgkmcnt(0)
	v_add_co_u32_e32 v28, vcc, v28, v62
	v_addc_co_u32_e32 v29, vcc, 0, v29, vcc
	v_cmp_lt_u64_e32 vcc, v[0:1], v[28:29]
	s_and_saveexec_b64 s[76:77], vcc
	s_cbranch_execz .LBB16_984
; %bb.976:                              ;   in Loop: Header=BB16_948 Depth=2
	s_mov_b32 s30, 0
	s_mov_b64 s[78:79], 0
                                        ; implicit-def: $sgpr88_sgpr89
                                        ; implicit-def: $sgpr90_sgpr91
	s_branch .LBB16_978
.LBB16_977:                             ;   in Loop: Header=BB16_978 Depth=3
	s_or_b64 exec, exec, s[94:95]
	s_and_b64 s[92:93], exec, vcc
	s_or_b64 s[78:79], s[92:93], s[78:79]
	s_andn2_b64 s[88:89], s[88:89], exec
	s_and_b64 s[92:93], s[90:91], exec
	s_or_b64 s[88:89], s[88:89], s[92:93]
	s_andn2_b64 exec, exec, s[78:79]
	s_cbranch_execz .LBB16_982
.LBB16_978:                             ;   Parent Loop BB16_73 Depth=1
                                        ;     Parent Loop BB16_948 Depth=2
                                        ; =>    This Inner Loop Header: Depth=3
	s_add_i32 s30, s30, 1
	s_cmpk_lg_i32 s30, 0x2710
	s_cselect_b64 s[92:93], -1, 0
	s_and_b64 vcc, exec, s[92:93]
	s_cbranch_vccz .LBB16_980
; %bb.979:                              ;   in Loop: Header=BB16_978 Depth=3
	s_mov_b64 vcc, -1
	s_or_b64 s[90:91], s[90:91], exec
	s_and_saveexec_b64 s[94:95], s[92:93]
	s_cbranch_execz .LBB16_977
	s_branch .LBB16_981
.LBB16_980:                             ;   in Loop: Header=BB16_978 Depth=3
	s_trap 2
	ds_read_b64 v[0:1], v0
	s_andn2_b64 s[92:93], s[92:93], exec
	s_mov_b32 s30, 0
	s_waitcnt lgkmcnt(0)
	flat_load_dword v0, v[0:1] glc
	s_waitcnt vmcnt(0) lgkmcnt(0)
	buffer_wbinvl1_vol
	v_cmp_eq_u32_e32 vcc, 0, v0
	s_and_b64 s[94:95], vcc, exec
	s_or_b64 s[92:93], s[92:93], s[94:95]
	s_mov_b64 vcc, -1
	s_or_b64 s[90:91], s[90:91], exec
	s_and_saveexec_b64 s[94:95], s[92:93]
	s_cbranch_execz .LBB16_977
.LBB16_981:                             ;   in Loop: Header=BB16_978 Depth=3
	s_sleep 1
	s_trap 2
	ds_read_b64 v[0:1], v0
	s_waitcnt lgkmcnt(0)
	s_andn2_b64 s[90:91], s[90:91], exec
	v_cmp_ge_u64_e32 vcc, v[0:1], v[28:29]
	s_orn2_b64 vcc, vcc, exec
	s_branch .LBB16_977
.LBB16_982:                             ;   in Loop: Header=BB16_948 Depth=2
	s_or_b64 exec, exec, s[78:79]
	s_and_saveexec_b64 s[78:79], s[88:89]
	s_xor_b64 s[78:79], exec, s[78:79]
	s_cbranch_execz .LBB16_984
; %bb.983:                              ;   in Loop: Header=BB16_948 Depth=2
	ds_write_b32 v0, v13
	s_trap 2
.LBB16_984:                             ;   in Loop: Header=BB16_948 Depth=2
	s_or_b64 exec, exec, s[76:77]
	;;#ASMSTART
	s_wakeup
	;;#ASMEND
.LBB16_985:                             ;   in Loop: Header=BB16_948 Depth=2
	s_or_b64 exec, exec, s[74:75]
.LBB16_986:                             ;   in Loop: Header=BB16_948 Depth=2
	s_andn2_saveexec_b64 s[42:43], s[42:43]
	s_cbranch_execz .LBB16_988
; %bb.987:                              ;   in Loop: Header=BB16_948 Depth=2
	s_waitcnt vmcnt(0) lgkmcnt(0)
	buffer_wbinvl1_vol
	s_barrier
.LBB16_988:                             ;   in Loop: Header=BB16_948 Depth=2
	s_or_b64 exec, exec, s[42:43]
.LBB16_989:                             ;   in Loop: Header=BB16_948 Depth=2
	s_or_b64 exec, exec, s[26:27]
	v_sub_u32_e32 v0, v10, v40
	s_waitcnt vmcnt(0)
	v_min_i32_e32 v54, v54, v0
	s_and_saveexec_b64 s[26:27], s[18:19]
	s_xor_b64 s[26:27], exec, s[26:27]
	s_cbranch_execz .LBB16_993
; %bb.990:                              ;   in Loop: Header=BB16_948 Depth=2
	s_trap 2
	ds_read_b32 v0, v0
	v_cmp_lt_i32_e32 vcc, 0, v54
	s_waitcnt lgkmcnt(0)
	v_readfirstlane_b32 s42, v0
	s_cmp_eq_u32 s42, 0
	s_cselect_b64 s[42:43], -1, 0
	v_and_b32_e32 v0, 16, v56
	s_and_b64 s[42:43], vcc, s[42:43]
	v_cmp_ne_u32_e32 vcc, 0, v0
	s_and_b64 s[74:75], vcc, s[42:43]
	s_and_saveexec_b64 s[42:43], s[74:75]
	s_cbranch_execz .LBB16_992
; %bb.991:                              ;   in Loop: Header=BB16_948 Depth=2
	buffer_wbinvl1_vol
.LBB16_992:                             ;   in Loop: Header=BB16_948 Depth=2
	s_or_b64 exec, exec, s[42:43]
.LBB16_993:                             ;   in Loop: Header=BB16_948 Depth=2
	s_andn2_saveexec_b64 s[26:27], s[26:27]
	s_cbranch_execz .LBB16_1012
; %bb.994:                              ;   in Loop: Header=BB16_948 Depth=2
	s_and_saveexec_b64 s[42:43], s[58:59]
	s_xor_b64 s[42:43], exec, s[42:43]
	s_cbranch_execz .LBB16_1009
; %bb.995:                              ;   in Loop: Header=BB16_948 Depth=2
	s_and_saveexec_b64 s[74:75], s[6:7]
	s_cbranch_execz .LBB16_1008
; %bb.996:                              ;   in Loop: Header=BB16_948 Depth=2
	s_mov_b64 s[78:79], exec
	v_mbcnt_lo_u32_b32 v0, s78, 0
	v_mbcnt_hi_u32_b32 v0, s79, v0
	v_cmp_eq_u32_e32 vcc, 0, v0
	;;#ASMSTART
	s_waitcnt lgkmcnt(0) vmcnt(0)
	;;#ASMEND
	s_and_saveexec_b64 s[76:77], vcc
	s_cbranch_execz .LBB16_998
; %bb.997:                              ;   in Loop: Header=BB16_948 Depth=2
	s_bcnt1_i32_b64 s78, s[78:79]
	v_mov_b32_e32 v17, s78
	s_waitcnt lgkmcnt(0)
	ds_add_u64 v0, v[17:18]
	s_trap 2
.LBB16_998:                             ;   in Loop: Header=BB16_948 Depth=2
	s_or_b64 exec, exec, s[76:77]
	s_trap 2
	ds_read_b64 v[0:1], v0
	s_waitcnt lgkmcnt(0)
	v_add_co_u32_e32 v28, vcc, v28, v62
	v_addc_co_u32_e32 v29, vcc, 0, v29, vcc
	v_cmp_lt_u64_e32 vcc, v[0:1], v[28:29]
	s_and_saveexec_b64 s[76:77], vcc
	s_cbranch_execz .LBB16_1007
; %bb.999:                              ;   in Loop: Header=BB16_948 Depth=2
	s_mov_b32 s30, 0
	s_mov_b64 s[78:79], 0
                                        ; implicit-def: $sgpr88_sgpr89
                                        ; implicit-def: $sgpr90_sgpr91
	s_branch .LBB16_1001
.LBB16_1000:                            ;   in Loop: Header=BB16_1001 Depth=3
	s_or_b64 exec, exec, s[94:95]
	s_and_b64 s[92:93], exec, vcc
	s_or_b64 s[78:79], s[92:93], s[78:79]
	s_andn2_b64 s[88:89], s[88:89], exec
	s_and_b64 s[92:93], s[90:91], exec
	s_or_b64 s[88:89], s[88:89], s[92:93]
	s_andn2_b64 exec, exec, s[78:79]
	s_cbranch_execz .LBB16_1005
.LBB16_1001:                            ;   Parent Loop BB16_73 Depth=1
                                        ;     Parent Loop BB16_948 Depth=2
                                        ; =>    This Inner Loop Header: Depth=3
	s_add_i32 s30, s30, 1
	s_cmpk_lg_i32 s30, 0x2710
	s_cselect_b64 s[92:93], -1, 0
	s_and_b64 vcc, exec, s[92:93]
	s_cbranch_vccz .LBB16_1003
; %bb.1002:                             ;   in Loop: Header=BB16_1001 Depth=3
	s_mov_b64 vcc, -1
	s_or_b64 s[90:91], s[90:91], exec
	s_and_saveexec_b64 s[94:95], s[92:93]
	s_cbranch_execz .LBB16_1000
	s_branch .LBB16_1004
.LBB16_1003:                            ;   in Loop: Header=BB16_1001 Depth=3
	s_trap 2
	ds_read_b64 v[0:1], v0
	s_andn2_b64 s[92:93], s[92:93], exec
	s_mov_b32 s30, 0
	s_waitcnt lgkmcnt(0)
	flat_load_dword v0, v[0:1] glc
	s_waitcnt vmcnt(0) lgkmcnt(0)
	buffer_wbinvl1_vol
	v_cmp_eq_u32_e32 vcc, 0, v0
	s_and_b64 s[94:95], vcc, exec
	s_or_b64 s[92:93], s[92:93], s[94:95]
	s_mov_b64 vcc, -1
	s_or_b64 s[90:91], s[90:91], exec
	s_and_saveexec_b64 s[94:95], s[92:93]
	s_cbranch_execz .LBB16_1000
.LBB16_1004:                            ;   in Loop: Header=BB16_1001 Depth=3
	s_sleep 1
	s_trap 2
	ds_read_b64 v[0:1], v0
	s_waitcnt lgkmcnt(0)
	s_andn2_b64 s[90:91], s[90:91], exec
	v_cmp_ge_u64_e32 vcc, v[0:1], v[28:29]
	s_orn2_b64 vcc, vcc, exec
	s_branch .LBB16_1000
.LBB16_1005:                            ;   in Loop: Header=BB16_948 Depth=2
	s_or_b64 exec, exec, s[78:79]
	s_and_saveexec_b64 s[78:79], s[88:89]
	s_xor_b64 s[78:79], exec, s[78:79]
	s_cbranch_execz .LBB16_1007
; %bb.1006:                             ;   in Loop: Header=BB16_948 Depth=2
	ds_write_b32 v0, v13
	s_trap 2
.LBB16_1007:                            ;   in Loop: Header=BB16_948 Depth=2
	s_or_b64 exec, exec, s[76:77]
	;;#ASMSTART
	s_wakeup
	;;#ASMEND
.LBB16_1008:                            ;   in Loop: Header=BB16_948 Depth=2
	s_or_b64 exec, exec, s[74:75]
.LBB16_1009:                            ;   in Loop: Header=BB16_948 Depth=2
	s_andn2_saveexec_b64 s[42:43], s[42:43]
	s_cbranch_execz .LBB16_1011
; %bb.1010:                             ;   in Loop: Header=BB16_948 Depth=2
	;;#ASMSTART
	s_waitcnt lgkmcnt(0) vmcnt(0)
	;;#ASMEND
	s_waitcnt lgkmcnt(0)
	s_barrier
.LBB16_1011:                            ;   in Loop: Header=BB16_948 Depth=2
	s_or_b64 exec, exec, s[42:43]
.LBB16_1012:                            ;   in Loop: Header=BB16_948 Depth=2
	s_or_b64 exec, exec, s[26:27]
	v_and_b32_e32 v0, 32, v56
	v_cmp_ne_u32_e32 vcc, 0, v0
	s_and_saveexec_b64 s[26:27], vcc
	s_cbranch_execz .LBB16_947
; %bb.1013:                             ;   in Loop: Header=BB16_948 Depth=2
	v_add_co_u32_e32 v48, vcc, 2, v48
	v_addc_co_u32_e32 v49, vcc, 0, v49, vcc
	flat_store_dwordx2 v[24:25], v[48:49]
	s_branch .LBB16_947
.LBB16_1014:
	s_or_b64 exec, exec, s[60:61]
	buffer_load_dword v10, off, s[0:3], s33 offset:276 ; 4-byte Folded Reload
	buffer_load_dword v31, off, s[0:3], s33 offset:280 ; 4-byte Folded Reload
	;; [unrolled: 1-line block ×5, first 2 shown]
.LBB16_1015:
	s_or_b64 exec, exec, s[56:57]
	v_and_b32_e32 v0, 0x800, v56
	v_cmp_eq_u32_e32 vcc, 0, v0
	s_and_saveexec_b64 s[6:7], vcc
	s_cbranch_execz .LBB16_1048
; %bb.1016:
	v_and_b32_e32 v0, 48, v56
	v_cmp_ne_u32_e32 vcc, 0, v0
	s_and_saveexec_b64 s[4:5], vcc
	s_cbranch_execz .LBB16_1018
; %bb.1017:
	s_waitcnt vmcnt(0)
	flat_store_dwordx2 v[12:13], v[48:49] offset:104
.LBB16_1018:
	s_or_b64 exec, exec, s[4:5]
	s_movk_i32 s4, 0x88
	v_and_b32_e32 v0, 0x88, v56
	v_cmp_eq_u32_e32 vcc, s4, v0
	s_and_saveexec_b64 s[10:11], vcc
	s_cbranch_execz .LBB16_1028
; %bb.1019:
	v_add_u32_e32 v0, 6, v48
	v_and_b32_e32 v0, 7, v0
	v_mad_u64_u32 v[2:3], s[4:5], v0, 24, v[26:27]
	v_and_b32_e32 v4, 64, v56
	v_cmp_eq_u32_e64 s[4:5], 0, v4
	flat_load_dwordx2 v[0:1], v[2:3] offset:8 glc
	s_waitcnt vmcnt(0)
	s_mov_b32 s22, 0
	s_waitcnt lgkmcnt(0)
	v_cmp_ne_u64_e32 vcc, -1, v[0:1]
	s_and_b64 s[4:5], vcc, s[4:5]
	s_and_b64 exec, exec, s[4:5]
	s_cbranch_execz .LBB16_1028
; %bb.1020:
	s_mov_b64 s[4:5], 0
                                        ; implicit-def: $sgpr12_sgpr13
                                        ; implicit-def: $sgpr14_sgpr15
	s_branch .LBB16_1023
.LBB16_1021:                            ;   in Loop: Header=BB16_1023 Depth=1
	flat_load_dwordx2 v[4:5], v[2:3] offset:8 glc
	s_waitcnt vmcnt(0)
	s_andn2_b64 s[14:15], s[14:15], exec
	s_waitcnt lgkmcnt(0)
	v_cmp_eq_u64_e32 vcc, -1, v[4:5]
	s_orn2_b64 s[18:19], vcc, exec
.LBB16_1022:                            ;   in Loop: Header=BB16_1023 Depth=1
	s_or_b64 exec, exec, s[20:21]
	s_and_b64 s[16:17], exec, s[18:19]
	s_or_b64 s[4:5], s[16:17], s[4:5]
	s_andn2_b64 s[12:13], s[12:13], exec
	s_and_b64 s[16:17], s[14:15], exec
	s_or_b64 s[12:13], s[12:13], s[16:17]
	s_andn2_b64 exec, exec, s[4:5]
	s_cbranch_execz .LBB16_1026
.LBB16_1023:                            ; =>This Inner Loop Header: Depth=1
	s_cmpk_lt_i32 s22, 0x270f
	s_cselect_b64 s[16:17], -1, 0
	s_and_b64 vcc, exec, s[16:17]
	s_cbranch_vccnz .LBB16_1025
; %bb.1024:                             ;   in Loop: Header=BB16_1023 Depth=1
	s_trap 2
	ds_read_b64 v[0:1], v0
	s_andn2_b64 s[16:17], s[16:17], exec
	s_mov_b32 s22, 0
	s_waitcnt lgkmcnt(0)
	flat_load_dword v0, v[0:1] glc
	s_waitcnt vmcnt(0) lgkmcnt(0)
	buffer_wbinvl1_vol
	v_cmp_eq_u32_e32 vcc, 0, v0
	s_and_b64 s[18:19], vcc, exec
	s_or_b64 s[16:17], s[16:17], s[18:19]
	s_mov_b64 s[18:19], -1
	s_or_b64 s[14:15], s[14:15], exec
	s_and_saveexec_b64 s[20:21], s[16:17]
	s_cbranch_execz .LBB16_1022
	s_branch .LBB16_1021
.LBB16_1025:                            ;   in Loop: Header=BB16_1023 Depth=1
	s_add_i32 s22, s22, 1
                                        ; implicit-def: $vgpr0
	s_mov_b64 s[18:19], -1
	s_or_b64 s[14:15], s[14:15], exec
	s_and_saveexec_b64 s[20:21], s[16:17]
	s_cbranch_execz .LBB16_1022
	s_branch .LBB16_1021
.LBB16_1026:
	s_or_b64 exec, exec, s[4:5]
	s_and_saveexec_b64 s[4:5], s[12:13]
	s_xor_b64 s[4:5], exec, s[4:5]
	s_cbranch_execz .LBB16_1028
; %bb.1027:
	ds_write_b32 v0, v0
	s_trap 2
.LBB16_1028:
	s_or_b64 exec, exec, s[10:11]
	v_and_b32_e32 v0, 0x2000, v56
	v_cmp_ne_u32_e32 vcc, 0, v0
	s_and_saveexec_b64 s[4:5], vcc
	s_cbranch_execz .LBB16_1030
; %bb.1029:
	s_trap 2
	ds_read_b64 v[0:1], v0
	buffer_load_dword v2, off, s[0:3], s33 offset:296 ; 4-byte Folded Reload
	buffer_load_dword v3, off, s[0:3], s33 offset:300 ; 4-byte Folded Reload
	s_waitcnt vmcnt(0) lgkmcnt(0)
	flat_store_dwordx2 v[2:3], v[0:1] offset:16
.LBB16_1030:
	s_or_b64 exec, exec, s[4:5]
	s_waitcnt vmcnt(0)
	v_cmp_ne_u32_e32 vcc, 64, v10
	s_and_b64 exec, exec, vcc
	s_cbranch_execz .LBB16_1048
; %bb.1031:
	v_cmp_ne_u32_sdwa s[4:5], v10, v11 src0_sel:DWORD src1_sel:WORD_0
	s_and_saveexec_b64 s[10:11], s[4:5]
	s_xor_b64 s[4:5], exec, s[10:11]
	s_cbranch_execz .LBB16_1046
; %bb.1032:
	v_and_b32_e32 v0, 63, v31
	v_cmp_eq_u32_e32 vcc, 0, v0
	s_and_saveexec_b64 s[10:11], vcc
	s_cbranch_execz .LBB16_1045
; %bb.1033:
	s_mov_b64 s[14:15], exec
	v_mbcnt_lo_u32_b32 v0, s14, 0
	v_mbcnt_hi_u32_b32 v0, s15, v0
	v_cmp_eq_u32_e32 vcc, 0, v0
	s_waitcnt lgkmcnt(0)
	buffer_wbinvl1_vol
	s_and_saveexec_b64 s[12:13], vcc
	s_cbranch_execz .LBB16_1035
; %bb.1034:
	s_bcnt1_i32_b64 s14, s[14:15]
	v_mov_b32_e32 v0, s14
	v_mov_b32_e32 v1, 0
	ds_add_u64 v0, v[0:1]
	s_trap 2
.LBB16_1035:
	s_or_b64 exec, exec, s[12:13]
	v_lshrrev_b32_e32 v0, 6, v10
	s_trap 2
	ds_read_b64 v[2:3], v0
	s_waitcnt lgkmcnt(0)
	v_add_co_u32_e32 v0, vcc, v28, v0
	v_addc_co_u32_e32 v1, vcc, 0, v29, vcc
	v_cmp_lt_u64_e32 vcc, v[2:3], v[0:1]
	s_and_saveexec_b64 s[12:13], vcc
	s_cbranch_execz .LBB16_1044
; %bb.1036:
	s_mov_b32 s26, 0
	s_mov_b64 s[14:15], 0
                                        ; implicit-def: $sgpr16_sgpr17
                                        ; implicit-def: $sgpr18_sgpr19
	s_branch .LBB16_1038
.LBB16_1037:                            ;   in Loop: Header=BB16_1038 Depth=1
	s_or_b64 exec, exec, s[22:23]
	s_and_b64 s[20:21], exec, s[24:25]
	s_or_b64 s[14:15], s[20:21], s[14:15]
	s_andn2_b64 s[16:17], s[16:17], exec
	s_and_b64 s[20:21], s[18:19], exec
	s_or_b64 s[16:17], s[16:17], s[20:21]
	s_andn2_b64 exec, exec, s[14:15]
	s_cbranch_execz .LBB16_1042
.LBB16_1038:                            ; =>This Inner Loop Header: Depth=1
	s_add_i32 s26, s26, 1
	s_cmpk_lg_i32 s26, 0x2710
	s_cselect_b64 s[20:21], -1, 0
	s_and_b64 vcc, exec, s[20:21]
	s_cbranch_vccz .LBB16_1040
; %bb.1039:                             ;   in Loop: Header=BB16_1038 Depth=1
	s_mov_b64 s[24:25], -1
	s_or_b64 s[18:19], s[18:19], exec
	s_and_saveexec_b64 s[22:23], s[20:21]
	s_cbranch_execz .LBB16_1037
	s_branch .LBB16_1041
.LBB16_1040:                            ;   in Loop: Header=BB16_1038 Depth=1
	s_trap 2
	ds_read_b64 v[2:3], v0
	s_andn2_b64 s[20:21], s[20:21], exec
	s_mov_b32 s26, 0
	s_waitcnt lgkmcnt(0)
	flat_load_dword v2, v[2:3] glc
	s_waitcnt vmcnt(0) lgkmcnt(0)
	buffer_wbinvl1_vol
	v_cmp_eq_u32_e32 vcc, 0, v2
	s_and_b64 s[22:23], vcc, exec
	s_or_b64 s[20:21], s[20:21], s[22:23]
	s_mov_b64 s[24:25], -1
	s_or_b64 s[18:19], s[18:19], exec
	s_and_saveexec_b64 s[22:23], s[20:21]
	s_cbranch_execz .LBB16_1037
.LBB16_1041:                            ;   in Loop: Header=BB16_1038 Depth=1
	s_sleep 1
	s_trap 2
	ds_read_b64 v[2:3], v0
	s_waitcnt lgkmcnt(0)
	s_andn2_b64 s[18:19], s[18:19], exec
	v_cmp_ge_u64_e32 vcc, v[2:3], v[0:1]
	s_orn2_b64 s[24:25], vcc, exec
	s_branch .LBB16_1037
.LBB16_1042:
	s_or_b64 exec, exec, s[14:15]
	s_and_saveexec_b64 s[14:15], s[16:17]
	s_xor_b64 s[14:15], exec, s[14:15]
	s_cbranch_execz .LBB16_1044
; %bb.1043:
	v_mov_b32_e32 v0, 1
	ds_write_b32 v0, v0
	s_trap 2
.LBB16_1044:
	s_or_b64 exec, exec, s[12:13]
	;;#ASMSTART
	s_wakeup
	;;#ASMEND
.LBB16_1045:
	s_or_b64 exec, exec, s[10:11]
.LBB16_1046:
	s_andn2_saveexec_b64 s[4:5], s[4:5]
	s_cbranch_execz .LBB16_1048
; %bb.1047:
	s_waitcnt lgkmcnt(0)
	buffer_wbinvl1_vol
	s_barrier
.LBB16_1048:
	s_or_b64 exec, exec, s[6:7]
.LBB16_1049:
	s_andn2_saveexec_b64 s[26:27], s[46:47]
	s_cbranch_execz .LBB16_1051
; %bb.1050:
	s_getpc_b64 s[4:5]
	s_add_u32 s4, s4, __PRETTY_FUNCTION__._ZN10PrimitivesIa7FuncSumIaE12FanSymmetricILi1EELi0E11ProtoSimpleILi2ELi2ELi0ELi4ELi0ELi0EELi0ELb0ELi0ELi0ELi0EEC2EiiPKiS8_PKvPvmhhhP15ncclDevWorkCollP14ncclDevWorkP2pii@rel32@lo+4
	s_addc_u32 s5, s5, __PRETTY_FUNCTION__._ZN10PrimitivesIa7FuncSumIaE12FanSymmetricILi1EELi0E11ProtoSimpleILi2ELi2ELi0ELi4ELi0ELi0EELi0ELb0ELi0ELi0ELi0EEC2EiiPKiS8_PKvPvmhhhP15ncclDevWorkCollP14ncclDevWorkP2pii@rel32@hi+12
	s_getpc_b64 s[6:7]
	s_add_u32 s6, s6, __assert_fail@rel32@lo+4
	s_addc_u32 s7, s7, __assert_fail@rel32@hi+12
	v_mov_b32_e32 v0, s4
	v_mov_b32_e32 v1, s5
	s_swappc_b64 s[30:31], s[6:7]
	; divergent unreachable
.LBB16_1051:
	s_or_b64 exec, exec, s[26:27]
.LBB16_1052:
	s_or_b64 exec, exec, s[44:45]
	buffer_load_dword v62, off, s[0:3], s33 ; 4-byte Folded Reload
	s_waitcnt lgkmcnt(0)
	buffer_load_dword v61, off, s[0:3], s33 offset:4 ; 4-byte Folded Reload
	buffer_load_dword v60, off, s[0:3], s33 offset:8 ; 4-byte Folded Reload
	;; [unrolled: 1-line block ×14, first 2 shown]
	v_readlane_b32 s30, v63, 19
	v_readlane_b32 s31, v63, 20
	v_readlane_b32 s68, v63, 18
	v_readlane_b32 s67, v63, 17
	v_readlane_b32 s66, v63, 16
	v_readlane_b32 s65, v63, 15
	v_readlane_b32 s64, v63, 14
	v_readlane_b32 s55, v63, 13
	v_readlane_b32 s54, v63, 12
	v_readlane_b32 s53, v63, 11
	v_readlane_b32 s52, v63, 10
	v_readlane_b32 s51, v63, 9
	v_readlane_b32 s50, v63, 8
	v_readlane_b32 s49, v63, 7
	v_readlane_b32 s48, v63, 6
	v_readlane_b32 s39, v63, 5
	v_readlane_b32 s38, v63, 4
	v_readlane_b32 s37, v63, 3
	v_readlane_b32 s36, v63, 2
	v_readlane_b32 s35, v63, 1
	v_readlane_b32 s34, v63, 0
	s_mov_b32 s32, s33
	v_readlane_b32 s4, v63, 21
	s_or_saveexec_b64 s[6:7], -1
	buffer_load_dword v63, off, s[0:3], s33 offset:304 ; 4-byte Folded Reload
	s_mov_b64 exec, s[6:7]
	s_mov_b32 s33, s4
	s_waitcnt vmcnt(0)
	s_setpc_b64 s[30:31]
.Lfunc_end16:
	.size	_ZN12_GLOBAL__N_17runRingIa7FuncSumIaE11ProtoSimpleILi2ELi2ELi0ELi4ELi0ELi0EELi0ELi4ELi0ELb0EEEviiP15ncclDevWorkColl, .Lfunc_end16-_ZN12_GLOBAL__N_17runRingIa7FuncSumIaE11ProtoSimpleILi2ELi2ELi0ELi4ELi0ELi0EELi0ELi4ELi0ELb0EEEviiP15ncclDevWorkColl
                                        ; -- End function
	.set .L_ZN12_GLOBAL__N_17runRingIa7FuncSumIaE11ProtoSimpleILi2ELi2ELi0ELi4ELi0ELi0EELi0ELi4ELi0ELb0EEEviiP15ncclDevWorkColl.num_vgpr, max(64, .L__assert_fail.num_vgpr)
	.set .L_ZN12_GLOBAL__N_17runRingIa7FuncSumIaE11ProtoSimpleILi2ELi2ELi0ELi4ELi0ELi0EELi0ELi4ELi0ELb0EEEviiP15ncclDevWorkColl.num_agpr, max(0, .L__assert_fail.num_agpr)
	.set .L_ZN12_GLOBAL__N_17runRingIa7FuncSumIaE11ProtoSimpleILi2ELi2ELi0ELi4ELi0ELi0EELi0ELi4ELi0ELb0EEEviiP15ncclDevWorkColl.numbered_sgpr, max(96, .L__assert_fail.numbered_sgpr)
	.set .L_ZN12_GLOBAL__N_17runRingIa7FuncSumIaE11ProtoSimpleILi2ELi2ELi0ELi4ELi0ELi0EELi0ELi4ELi0ELb0EEEviiP15ncclDevWorkColl.num_named_barrier, max(0, .L__assert_fail.num_named_barrier)
	.set .L_ZN12_GLOBAL__N_17runRingIa7FuncSumIaE11ProtoSimpleILi2ELi2ELi0ELi4ELi0ELi0EELi0ELi4ELi0ELb0EEEviiP15ncclDevWorkColl.private_seg_size, 320+max(.L__assert_fail.private_seg_size)
	.set .L_ZN12_GLOBAL__N_17runRingIa7FuncSumIaE11ProtoSimpleILi2ELi2ELi0ELi4ELi0ELi0EELi0ELi4ELi0ELb0EEEviiP15ncclDevWorkColl.uses_vcc, or(1, .L__assert_fail.uses_vcc)
	.set .L_ZN12_GLOBAL__N_17runRingIa7FuncSumIaE11ProtoSimpleILi2ELi2ELi0ELi4ELi0ELi0EELi0ELi4ELi0ELb0EEEviiP15ncclDevWorkColl.uses_flat_scratch, or(0, .L__assert_fail.uses_flat_scratch)
	.set .L_ZN12_GLOBAL__N_17runRingIa7FuncSumIaE11ProtoSimpleILi2ELi2ELi0ELi4ELi0ELi0EELi0ELi4ELi0ELb0EEEviiP15ncclDevWorkColl.has_dyn_sized_stack, or(0, .L__assert_fail.has_dyn_sized_stack)
	.set .L_ZN12_GLOBAL__N_17runRingIa7FuncSumIaE11ProtoSimpleILi2ELi2ELi0ELi4ELi0ELi0EELi0ELi4ELi0ELb0EEEviiP15ncclDevWorkColl.has_recursion, or(1, .L__assert_fail.has_recursion)
	.set .L_ZN12_GLOBAL__N_17runRingIa7FuncSumIaE11ProtoSimpleILi2ELi2ELi0ELi4ELi0ELi0EELi0ELi4ELi0ELb0EEEviiP15ncclDevWorkColl.has_indirect_call, or(0, .L__assert_fail.has_indirect_call)
	.section	.AMDGPU.csdata,"",@progbits
; Function info:
; codeLenInByte = 38632
; TotalNumSgprs: 100
; NumVgprs: 64
; ScratchSize: 384
; MemoryBound: 0
	.text
	.p2align	2                               ; -- Begin function _Z46ncclDevFunc_AllGather_RING_SIMPLE_Sum_i8_0_0_4v
	.type	_Z46ncclDevFunc_AllGather_RING_SIMPLE_Sum_i8_0_0_4v,@function
_Z46ncclDevFunc_AllGather_RING_SIMPLE_Sum_i8_0_0_4v: ; @_Z46ncclDevFunc_AllGather_RING_SIMPLE_Sum_i8_0_0_4v
; %bb.0:
	s_waitcnt vmcnt(0) expcnt(0) lgkmcnt(0)
	s_mov_b32 s4, s33
	s_mov_b32 s33, s32
	s_or_saveexec_b64 s[6:7], -1
	buffer_store_dword v43, off, s[0:3], s33 offset:16 ; 4-byte Folded Spill
	s_mov_b64 exec, s[6:7]
	v_writelane_b32 v43, s4, 27
	s_addk_i32 s32, 0x800
	buffer_store_dword v40, off, s[0:3], s33 offset:12 ; 4-byte Folded Spill
	buffer_store_dword v41, off, s[0:3], s33 offset:8 ; 4-byte Folded Spill
	;; [unrolled: 1-line block ×3, first 2 shown]
	buffer_store_dword v63, off, s[0:3], s33 ; 4-byte Folded Spill
	v_writelane_b32 v43, s34, 0
	v_writelane_b32 v43, s35, 1
	;; [unrolled: 1-line block ×27, first 2 shown]
	s_trap 2
	ds_read_b32 v0, v0
	v_mov_b32_e32 v40, v31
	s_mov_b32 s69, s12
	s_mov_b64 s[70:71], s[8:9]
	s_waitcnt lgkmcnt(0)
	v_cmp_gt_i32_e32 vcc, 1, v0
	s_cbranch_vccnz .LBB17_8
; %bb.1:
	s_mov_b32 s82, 0
	v_and_b32_e32 v41, 0x3ff, v40
	v_mov_b32_e32 v42, 6
	s_branch .LBB17_3
.LBB17_2:                               ;   in Loop: Header=BB17_3 Depth=1
	s_or_b64 exec, exec, s[80:81]
	s_trap 2
	ds_read_b32 v0, v0
	s_add_i32 s82, s82, 1
	s_waitcnt lgkmcnt(0)
	v_cmp_lt_i32_e32 vcc, s82, v0
	s_cbranch_vccz .LBB17_8
.LBB17_3:                               ; =>This Inner Loop Header: Depth=1
	s_trap 2
	ds_read_b32 v0, v0
	s_cmp_eq_u32 s82, 0
	s_cbranch_scc1 .LBB17_6
; %bb.4:                                ;   in Loop: Header=BB17_3 Depth=1
	s_trap 2
	s_waitcnt lgkmcnt(0)
	ds_read_b32 v1, v0
	s_waitcnt lgkmcnt(0)
	v_xor_b32_e32 v1, v1, v0
	v_and_b32_e32 v1, 0xff0000, v1
	v_cmp_eq_u32_e32 vcc, 0, v1
	s_cbranch_vccnz .LBB17_6
; %bb.5:                                ;   in Loop: Header=BB17_3 Depth=1
	s_waitcnt vmcnt(0)
	s_barrier
	ds_read_b32 v0, v0
.LBB17_6:                               ;   in Loop: Header=BB17_3 Depth=1
	s_waitcnt lgkmcnt(0)
	v_lshlrev_b32_sdwa v1, v42, v0 dst_sel:DWORD dst_unused:UNUSED_PAD src0_sel:DWORD src1_sel:BYTE_2
	v_cmp_lt_u32_e32 vcc, v41, v1
	s_and_saveexec_b64 s[80:81], vcc
	s_cbranch_execz .LBB17_2
; %bb.7:                                ;   in Loop: Header=BB17_3 Depth=1
	s_mov_b64 s[4:5], src_shared_base
	s_getpc_b64 s[6:7]
	s_add_u32 s6, s6, _ZN12_GLOBAL__N_17runRingIa7FuncSumIaE11ProtoSimpleILi2ELi2ELi0ELi4ELi0ELi0EELi0ELi4ELi0ELb0EEEviiP15ncclDevWorkColl@rel32@lo+4
	s_addc_u32 s7, s7, _ZN12_GLOBAL__N_17runRingIa7FuncSumIaE11ProtoSimpleILi2ELi2ELi0ELi4ELi0ELi0EELi0ELi4ELi0ELb0EEEviiP15ncclDevWorkColl@rel32@hi+12
	s_mov_b64 s[8:9], s[70:71]
	s_mov_b32 s12, s69
	v_mov_b32_e32 v31, v40
	v_mov_b32_e32 v0, v41
	v_mov_b32_e32 v3, s5
	s_swappc_b64 s[30:31], s[6:7]
	s_branch .LBB17_2
.LBB17_8:
	buffer_load_dword v63, off, s[0:3], s33 ; 4-byte Folded Reload
	buffer_load_dword v42, off, s[0:3], s33 offset:4 ; 4-byte Folded Reload
	buffer_load_dword v41, off, s[0:3], s33 offset:8 ; 4-byte Folded Reload
	;; [unrolled: 1-line block ×3, first 2 shown]
	v_readlane_b32 s30, v43, 25
	v_readlane_b32 s31, v43, 26
	;; [unrolled: 1-line block ×27, first 2 shown]
	s_mov_b32 s32, s33
	v_readlane_b32 s4, v43, 27
	s_or_saveexec_b64 s[6:7], -1
	buffer_load_dword v43, off, s[0:3], s33 offset:16 ; 4-byte Folded Reload
	s_mov_b64 exec, s[6:7]
	s_mov_b32 s33, s4
	s_waitcnt vmcnt(0)
	s_setpc_b64 s[30:31]
.Lfunc_end17:
	.size	_Z46ncclDevFunc_AllGather_RING_SIMPLE_Sum_i8_0_0_4v, .Lfunc_end17-_Z46ncclDevFunc_AllGather_RING_SIMPLE_Sum_i8_0_0_4v
                                        ; -- End function
	.set .L_Z46ncclDevFunc_AllGather_RING_SIMPLE_Sum_i8_0_0_4v.num_vgpr, max(64, .L_ZN12_GLOBAL__N_17runRingIa7FuncSumIaE11ProtoSimpleILi2ELi2ELi0ELi4ELi0ELi0EELi0ELi4ELi0ELb0EEEviiP15ncclDevWorkColl.num_vgpr)
	.set .L_Z46ncclDevFunc_AllGather_RING_SIMPLE_Sum_i8_0_0_4v.num_agpr, max(0, .L_ZN12_GLOBAL__N_17runRingIa7FuncSumIaE11ProtoSimpleILi2ELi2ELi0ELi4ELi0ELi0EELi0ELi4ELi0ELb0EEEviiP15ncclDevWorkColl.num_agpr)
	.set .L_Z46ncclDevFunc_AllGather_RING_SIMPLE_Sum_i8_0_0_4v.numbered_sgpr, max(83, .L_ZN12_GLOBAL__N_17runRingIa7FuncSumIaE11ProtoSimpleILi2ELi2ELi0ELi4ELi0ELi0EELi0ELi4ELi0ELb0EEEviiP15ncclDevWorkColl.numbered_sgpr)
	.set .L_Z46ncclDevFunc_AllGather_RING_SIMPLE_Sum_i8_0_0_4v.num_named_barrier, max(0, .L_ZN12_GLOBAL__N_17runRingIa7FuncSumIaE11ProtoSimpleILi2ELi2ELi0ELi4ELi0ELi0EELi0ELi4ELi0ELb0EEEviiP15ncclDevWorkColl.num_named_barrier)
	.set .L_Z46ncclDevFunc_AllGather_RING_SIMPLE_Sum_i8_0_0_4v.private_seg_size, 32+max(.L_ZN12_GLOBAL__N_17runRingIa7FuncSumIaE11ProtoSimpleILi2ELi2ELi0ELi4ELi0ELi0EELi0ELi4ELi0ELb0EEEviiP15ncclDevWorkColl.private_seg_size)
	.set .L_Z46ncclDevFunc_AllGather_RING_SIMPLE_Sum_i8_0_0_4v.uses_vcc, or(1, .L_ZN12_GLOBAL__N_17runRingIa7FuncSumIaE11ProtoSimpleILi2ELi2ELi0ELi4ELi0ELi0EELi0ELi4ELi0ELb0EEEviiP15ncclDevWorkColl.uses_vcc)
	.set .L_Z46ncclDevFunc_AllGather_RING_SIMPLE_Sum_i8_0_0_4v.uses_flat_scratch, or(0, .L_ZN12_GLOBAL__N_17runRingIa7FuncSumIaE11ProtoSimpleILi2ELi2ELi0ELi4ELi0ELi0EELi0ELi4ELi0ELb0EEEviiP15ncclDevWorkColl.uses_flat_scratch)
	.set .L_Z46ncclDevFunc_AllGather_RING_SIMPLE_Sum_i8_0_0_4v.has_dyn_sized_stack, or(0, .L_ZN12_GLOBAL__N_17runRingIa7FuncSumIaE11ProtoSimpleILi2ELi2ELi0ELi4ELi0ELi0EELi0ELi4ELi0ELb0EEEviiP15ncclDevWorkColl.has_dyn_sized_stack)
	.set .L_Z46ncclDevFunc_AllGather_RING_SIMPLE_Sum_i8_0_0_4v.has_recursion, or(1, .L_ZN12_GLOBAL__N_17runRingIa7FuncSumIaE11ProtoSimpleILi2ELi2ELi0ELi4ELi0ELi0EELi0ELi4ELi0ELb0EEEviiP15ncclDevWorkColl.has_recursion)
	.set .L_Z46ncclDevFunc_AllGather_RING_SIMPLE_Sum_i8_0_0_4v.has_indirect_call, or(0, .L_ZN12_GLOBAL__N_17runRingIa7FuncSumIaE11ProtoSimpleILi2ELi2ELi0ELi4ELi0ELi0EELi0ELi4ELi0ELb0EEEviiP15ncclDevWorkColl.has_indirect_call)
	.section	.AMDGPU.csdata,"",@progbits
; Function info:
; codeLenInByte = 816
; TotalNumSgprs: 100
; NumVgprs: 64
; ScratchSize: 416
; MemoryBound: 0
	.text
	.p2align	2                               ; -- Begin function _Z41ncclDevFunc_AllGather_PAT_LL_Sum_i8_0_0_4v
	.type	_Z41ncclDevFunc_AllGather_PAT_LL_Sum_i8_0_0_4v,@function
_Z41ncclDevFunc_AllGather_PAT_LL_Sum_i8_0_0_4v: ; @_Z41ncclDevFunc_AllGather_PAT_LL_Sum_i8_0_0_4v
; %bb.0:
	s_waitcnt vmcnt(0) expcnt(0) lgkmcnt(0)
	s_trap 2
	ds_read_b32 v0, v0
	s_waitcnt lgkmcnt(0)
	v_cmp_gt_i32_e32 vcc, 1, v0
	s_cbranch_vccnz .LBB18_6
; %bb.1:
	s_mov_b32 s4, 0
	s_branch .LBB18_3
.LBB18_2:                               ;   in Loop: Header=BB18_3 Depth=1
	s_add_i32 s4, s4, 1
	s_waitcnt lgkmcnt(0)
	v_cmp_lt_i32_e32 vcc, s4, v0
	s_cbranch_vccz .LBB18_6
.LBB18_3:                               ; =>This Inner Loop Header: Depth=1
	s_cmp_eq_u32 s4, 0
	s_cbranch_scc1 .LBB18_2
; %bb.4:                                ;   in Loop: Header=BB18_3 Depth=1
	s_trap 2
	ds_read_b32 v1, v0
	s_waitcnt lgkmcnt(0)
	v_xor_b32_e32 v1, v1, v1
	v_and_b32_e32 v1, 0xff0000, v1
	v_cmp_eq_u32_e32 vcc, 0, v1
	s_cbranch_vccnz .LBB18_2
; %bb.5:                                ;   in Loop: Header=BB18_3 Depth=1
	s_barrier
	s_trap 2
	ds_read_b32 v0, v0
	s_branch .LBB18_2
.LBB18_6:
	s_setpc_b64 s[30:31]
.Lfunc_end18:
	.size	_Z41ncclDevFunc_AllGather_PAT_LL_Sum_i8_0_0_4v, .Lfunc_end18-_Z41ncclDevFunc_AllGather_PAT_LL_Sum_i8_0_0_4v
                                        ; -- End function
	.set .L_Z41ncclDevFunc_AllGather_PAT_LL_Sum_i8_0_0_4v.num_vgpr, 2
	.set .L_Z41ncclDevFunc_AllGather_PAT_LL_Sum_i8_0_0_4v.num_agpr, 0
	.set .L_Z41ncclDevFunc_AllGather_PAT_LL_Sum_i8_0_0_4v.numbered_sgpr, 32
	.set .L_Z41ncclDevFunc_AllGather_PAT_LL_Sum_i8_0_0_4v.num_named_barrier, 0
	.set .L_Z41ncclDevFunc_AllGather_PAT_LL_Sum_i8_0_0_4v.private_seg_size, 0
	.set .L_Z41ncclDevFunc_AllGather_PAT_LL_Sum_i8_0_0_4v.uses_vcc, 1
	.set .L_Z41ncclDevFunc_AllGather_PAT_LL_Sum_i8_0_0_4v.uses_flat_scratch, 0
	.set .L_Z41ncclDevFunc_AllGather_PAT_LL_Sum_i8_0_0_4v.has_dyn_sized_stack, 0
	.set .L_Z41ncclDevFunc_AllGather_PAT_LL_Sum_i8_0_0_4v.has_recursion, 0
	.set .L_Z41ncclDevFunc_AllGather_PAT_LL_Sum_i8_0_0_4v.has_indirect_call, 0
	.section	.AMDGPU.csdata,"",@progbits
; Function info:
; codeLenInByte = 120
; TotalNumSgprs: 36
; NumVgprs: 2
; ScratchSize: 0
; MemoryBound: 0
	.text
	.p2align	2                               ; -- Begin function _Z45ncclDevFunc_AllGather_PAT_SIMPLE_Sum_i8_0_0_4v
	.type	_Z45ncclDevFunc_AllGather_PAT_SIMPLE_Sum_i8_0_0_4v,@function
_Z45ncclDevFunc_AllGather_PAT_SIMPLE_Sum_i8_0_0_4v: ; @_Z45ncclDevFunc_AllGather_PAT_SIMPLE_Sum_i8_0_0_4v
; %bb.0:
	s_waitcnt vmcnt(0) expcnt(0) lgkmcnt(0)
	s_or_saveexec_b64 s[4:5], -1
	buffer_store_dword v63, off, s[0:3], s32 offset:468 ; 4-byte Folded Spill
	s_mov_b64 exec, s[4:5]
	buffer_store_dword v40, off, s[0:3], s32 offset:56 ; 4-byte Folded Spill
	buffer_store_dword v41, off, s[0:3], s32 offset:52 ; 4-byte Folded Spill
	buffer_store_dword v42, off, s[0:3], s32 offset:48 ; 4-byte Folded Spill
	buffer_store_dword v43, off, s[0:3], s32 offset:44 ; 4-byte Folded Spill
	buffer_store_dword v44, off, s[0:3], s32 offset:40 ; 4-byte Folded Spill
	buffer_store_dword v45, off, s[0:3], s32 offset:36 ; 4-byte Folded Spill
	buffer_store_dword v46, off, s[0:3], s32 offset:32 ; 4-byte Folded Spill
	buffer_store_dword v47, off, s[0:3], s32 offset:28 ; 4-byte Folded Spill
	buffer_store_dword v56, off, s[0:3], s32 offset:24 ; 4-byte Folded Spill
	buffer_store_dword v57, off, s[0:3], s32 offset:20 ; 4-byte Folded Spill
	buffer_store_dword v58, off, s[0:3], s32 offset:16 ; 4-byte Folded Spill
	buffer_store_dword v59, off, s[0:3], s32 offset:12 ; 4-byte Folded Spill
	buffer_store_dword v60, off, s[0:3], s32 offset:8 ; 4-byte Folded Spill
	buffer_store_dword v61, off, s[0:3], s32 offset:4 ; 4-byte Folded Spill
	buffer_store_dword v62, off, s[0:3], s32 ; 4-byte Folded Spill
	v_writelane_b32 v63, s34, 0
	v_writelane_b32 v63, s35, 1
	;; [unrolled: 1-line block ×36, first 2 shown]
	s_trap 2
	ds_read_b32 v0, v0
	s_waitcnt lgkmcnt(0)
	v_cmp_gt_i32_e32 vcc, 1, v0
	s_cbranch_vccnz .LBB19_381
; %bb.1:
	s_load_dword s4, s[8:9], 0x0
	v_mov_b32_e32 v34, 0
	v_and_b32_e32 v32, 0x3ff, v31
	s_mov_b32 s40, 0
	s_brev_b32 s41, 1
	s_waitcnt lgkmcnt(0)
	s_cmp_lt_u32 s12, s4
	s_cselect_b32 s4, 12, 18
	s_add_u32 s4, s8, s4
	s_addc_u32 s5, s9, 0
	global_load_ushort v0, v34, s[4:5]
	s_movk_i32 s12, 0x80
	s_lshr_b32 s16, s32, 6
	v_cmp_gt_u32_e64 s[4:5], 32, v32
	v_cmp_eq_u32_e64 s[6:7], 0, v32
	v_cmp_eq_u32_e64 s[8:9], s12, v32
	v_cmp_ne_u32_e64 s[10:11], s12, v32
	v_cmp_gt_u32_e64 s[12:13], s12, v32
	s_add_i32 s34, s16, 0x98
	s_addk_i32 s36, 0x700
	v_mov_b32_e32 v56, 1
	s_movk_i32 s38, 0xffc0
	s_movk_i32 s39, 0xf840
	;; [unrolled: 1-line block ×28, first 2 shown]
	v_mov_b32_e32 v33, 2
	v_mov_b32_e32 v52, -1
	s_mov_b32 s98, s40
	s_waitcnt vmcnt(0)
	buffer_store_dword v0, off, s[0:3], s32 offset:460 ; 4-byte Folded Spill
	v_and_b32_e32 v0, 63, v31
	v_cmp_eq_u32_e64 s[14:15], 0, v0
	v_cvt_f32_i32_e32 v0, v32
	buffer_store_dword v0, off, s[0:3], s32 offset:464 ; 4-byte Folded Spill
	s_trap 2
	buffer_store_dword v32, off, s[0:3], s32 offset:456 ; 4-byte Folded Spill
	s_branch .LBB19_4
.LBB19_2:                               ;   in Loop: Header=BB19_4 Depth=1
	s_or_b64 exec, exec, s[24:25]
.LBB19_3:                               ;   in Loop: Header=BB19_4 Depth=1
	s_or_b64 exec, exec, s[42:43]
	s_trap 2
	ds_read_b32 v0, v0
	s_add_i32 s98, s98, 1
	s_waitcnt lgkmcnt(0)
	v_cmp_lt_i32_e32 vcc, s98, v0
	s_cbranch_vccz .LBB19_381
.LBB19_4:                               ; =>This Loop Header: Depth=1
                                        ;     Child Loop BB19_18 Depth 2
                                        ;     Child Loop BB19_26 Depth 2
	;; [unrolled: 1-line block ×4, first 2 shown]
                                        ;       Child Loop BB19_54 Depth 3
                                        ;       Child Loop BB19_86 Depth 3
	;; [unrolled: 1-line block ×12, first 2 shown]
                                        ;     Child Loop BB19_236 Depth 2
                                        ;     Child Loop BB19_248 Depth 2
	;; [unrolled: 1-line block ×6, first 2 shown]
                                        ;       Child Loop BB19_289 Depth 3
                                        ;       Child Loop BB19_346 Depth 3
	;; [unrolled: 1-line block ×4, first 2 shown]
	s_trap 2
	ds_read_b32 v8, v0
	s_cmp_eq_u32 s98, 0
	s_cbranch_scc1 .LBB19_7
; %bb.5:                                ;   in Loop: Header=BB19_4 Depth=1
	s_trap 2
	ds_read_b32 v0, v0
	s_waitcnt lgkmcnt(0)
	v_xor_b32_e32 v0, v0, v8
	v_and_b32_e32 v0, 0xff0000, v0
	v_cmp_eq_u32_e32 vcc, 0, v0
	s_cbranch_vccnz .LBB19_7
; %bb.6:                                ;   in Loop: Header=BB19_4 Depth=1
	s_waitcnt vmcnt(0)
	s_barrier
	s_trap 2
	ds_read_b32 v8, v0
.LBB19_7:                               ;   in Loop: Header=BB19_4 Depth=1
	s_waitcnt lgkmcnt(0)
	v_bfe_u32 v13, v8, 16, 8
	v_lshlrev_b32_e32 v12, 6, v13
	s_waitcnt vmcnt(0)
	v_cmp_lt_u32_e32 vcc, v32, v12
	s_and_saveexec_b64 s[42:43], vcc
	s_cbranch_execz .LBB19_3
; %bb.8:                                ;   in Loop: Header=BB19_4 Depth=1
	s_trap 2
	ds_read2_b64 v[0:3], v0 offset1:1
	v_not_b32_sdwa v10, v8 dst_sel:DWORD dst_unused:UNUSED_PAD src0_sel:BYTE_0
	v_add_u32_sdwa v6, v8, v10 dst_sel:DWORD dst_unused:UNUSED_PAD src0_sel:BYTE_1 src1_sel:DWORD
	v_ashrrev_i32_e32 v7, 31, v6
	s_waitcnt lgkmcnt(0)
	ds_read_b64 v[4:5], v0
	ds_read_b32 v9, v0
	v_mul_lo_u32 v7, v2, v7
	v_mul_hi_u32 v11, v2, v6
	v_mul_lo_u32 v14, v3, v6
	v_mul_lo_u32 v6, v2, v6
	s_waitcnt lgkmcnt(0)
	v_cmp_ne_u32_sdwa s[16:17], v9, v8 src0_sel:DWORD src1_sel:BYTE_0
	v_add_u32_e32 v7, v11, v7
	v_add_u32_e32 v7, v7, v14
	s_and_b64 vcc, exec, s[16:17]
	v_add_co_u32_e64 v6, s[16:17], v6, v0
	v_readfirstlane_b32 s37, v4
	v_readfirstlane_b32 s99, v5
	v_addc_co_u32_e64 v7, s[16:17], v7, v1, s[16:17]
	s_cbranch_vccz .LBB19_11
; %bb.9:                                ;   in Loop: Header=BB19_4 Depth=1
	v_cmp_ne_u32_sdwa s[16:17], v9, v8 src0_sel:DWORD src1_sel:BYTE_1
	s_and_b64 vcc, exec, s[16:17]
	s_cbranch_vccz .LBB19_12
; %bb.10:                               ;   in Loop: Header=BB19_4 Depth=1
	v_add_u32_e32 v8, v9, v10
	v_ashrrev_i32_e32 v9, 31, v8
	v_mul_lo_u32 v9, v2, v9
	v_mul_hi_u32 v10, v2, v8
	v_mul_lo_u32 v11, v3, v8
	v_mul_lo_u32 v8, v2, v8
	s_trap 2
	v_add_u32_e32 v9, v10, v9
	v_add_u32_e32 v9, v9, v11
	ds_read_b64 v[10:11], v0
	v_add_co_u32_e32 v8, vcc, v8, v0
	v_addc_co_u32_e32 v9, vcc, v9, v1, vcc
	s_waitcnt lgkmcnt(0)
	v_lshrrev_b64 v[10:11], 12, v[10:11]
	s_cbranch_execz .LBB19_13
	s_branch .LBB19_14
.LBB19_11:                              ;   in Loop: Header=BB19_4 Depth=1
                                        ; implicit-def: $vgpr10_vgpr11
                                        ; implicit-def: $vgpr8_vgpr9
	s_branch .LBB19_15
.LBB19_12:                              ;   in Loop: Header=BB19_4 Depth=1
                                        ; implicit-def: $vgpr10_vgpr11
                                        ; implicit-def: $vgpr8_vgpr9
.LBB19_13:                              ;   in Loop: Header=BB19_4 Depth=1
	s_trap 2
	ds_read_b32 v2, v0
	v_mov_b32_e32 v9, v7
	v_mov_b32_e32 v8, v6
	s_waitcnt lgkmcnt(0)
	v_lshrrev_b32_e32 v10, 1, v2
	v_mov_b32_e32 v2, v4
	v_mov_b32_e32 v3, v5
.LBB19_14:                              ;   in Loop: Header=BB19_4 Depth=1
	s_cbranch_execnz .LBB19_16
.LBB19_15:                              ;   in Loop: Header=BB19_4 Depth=1
	s_trap 2
	ds_read_b64 v[2:3], v0
	v_mov_b32_e32 v8, 0
	v_mov_b32_e32 v9, 0
	s_waitcnt lgkmcnt(0)
	v_lshlrev_b64 v[10:11], 9, v[2:3]
	v_mov_b32_e32 v3, v1
	v_mov_b32_e32 v2, v0
.LBB19_16:                              ;   in Loop: Header=BB19_4 Depth=1
	s_waitcnt vmcnt(0)
	s_barrier
	s_and_saveexec_b64 s[16:17], s[4:5]
	s_cbranch_execz .LBB19_19
; %bb.17:                               ;   in Loop: Header=BB19_4 Depth=1
	s_movk_i32 s18, 0xe00
	v_mul_lo_u32 v0, v13, s18
	s_mov_b64 s[18:19], 0
	v_mov_b32_e32 v11, v32
                                        ; implicit-def: $vgpr1
.LBB19_18:                              ;   Parent Loop BB19_4 Depth=1
                                        ; =>  This Inner Loop Header: Depth=2
	v_add_u32_e32 v11, v11, v12
	v_cmp_lt_u32_e32 vcc, 31, v11
	ds_write_b32 v1, v34
	s_or_b64 s[18:19], vcc, s[18:19]
	v_add_u32_e32 v1, v1, v0
	s_andn2_b64 exec, exec, s[18:19]
	s_cbranch_execnz .LBB19_18
.LBB19_19:                              ;   in Loop: Header=BB19_4 Depth=1
	s_or_b64 exec, exec, s[16:17]
	s_and_saveexec_b64 s[16:17], s[6:7]
	s_cbranch_execz .LBB19_21
; %bb.20:                               ;   in Loop: Header=BB19_4 Depth=1
	v_mov_b32_e32 v35, v34
	ds_write_b64 v0, v[34:35]
	s_trap 2
.LBB19_21:                              ;   in Loop: Header=BB19_4 Depth=1
	s_or_b64 exec, exec, s[16:17]
	s_and_saveexec_b64 s[16:17], s[8:9]
	s_cbranch_execz .LBB19_23
; %bb.22:                               ;   in Loop: Header=BB19_4 Depth=1
	ds_write_b32 v0, v34
	s_trap 2
.LBB19_23:                              ;   in Loop: Header=BB19_4 Depth=1
	s_or_b64 exec, exec, s[16:17]
	s_waitcnt lgkmcnt(0)
	s_barrier
	s_and_saveexec_b64 s[16:17], s[10:11]
	s_xor_b64 s[44:45], exec, s[16:17]
	s_cbranch_execz .LBB19_259
; %bb.24:                               ;   in Loop: Header=BB19_4 Depth=1
	s_and_saveexec_b64 s[46:47], s[12:13]
	s_cbranch_execz .LBB19_258
; %bb.25:                               ;   in Loop: Header=BB19_4 Depth=1
	s_trap 2
	ds_read_b128 v[0:3], v0
	s_mov_b64 s[16:17], 0
.LBB19_26:                              ;   Parent Loop BB19_4 Depth=1
                                        ; =>  This Inner Loop Header: Depth=2
	s_mov_b64 s[18:19], src_shared_base
	s_cmp_lg_u32 s36, -1
	s_cselect_b32 s18, s36, 0
	s_cselect_b32 s19, s19, 0
	v_mov_b32_e32 v4, s18
	v_mov_b32_e32 v5, s19
	flat_load_dword v4, v[4:5] glc
	s_waitcnt vmcnt(0)
	s_trap 2
	s_waitcnt lgkmcnt(0)
	v_cmp_ne_u32_e32 vcc, 0, v4
	s_or_b64 s[16:17], vcc, s[16:17]
	s_andn2_b64 exec, exec, s[16:17]
	s_cbranch_execnz .LBB19_26
; %bb.27:                               ;   in Loop: Header=BB19_4 Depth=1
	s_or_b64 exec, exec, s[16:17]
	v_lshlrev_b32_e32 v4, 6, v4
	v_sub_u32_e32 v5, 0, v4
	v_max_i32_e32 v5, v4, v5
	v_cvt_f32_u32_e32 v6, v5
	v_sub_u32_e32 v7, 0, v5
	v_ashrrev_i32_e32 v4, 31, v4
	v_mov_b32_e32 v62, 0x800
	v_rcp_iflag_f32_e32 v6, v6
	v_mul_f32_e32 v6, 0x4f7ffffe, v6
	v_cvt_u32_f32_e32 v6, v6
	v_mul_lo_u32 v7, v7, v6
	v_mul_hi_u32 v7, v6, v7
	v_add_u32_e32 v6, v6, v7
	v_lshrrev_b32_e32 v6, 25, v6
	v_mul_lo_u32 v7, v6, v5
	v_add_u32_e32 v8, 1, v6
	v_sub_u32_e32 v7, 0x80, v7
	v_cmp_ge_u32_e32 vcc, v7, v5
	v_cndmask_b32_e32 v6, v6, v8, vcc
	v_sub_u32_e32 v8, v7, v5
	v_cndmask_b32_e32 v7, v7, v8, vcc
	v_cmp_ge_u32_e32 vcc, v7, v5
	buffer_load_dword v7, off, s[0:3], s32 offset:464 ; 4-byte Folded Reload
	v_add_u32_e32 v8, 1, v6
	v_cndmask_b32_e32 v5, v6, v8, vcc
	v_xor_b32_e32 v5, v5, v4
	v_sub_u32_e32 v36, v5, v4
	v_lshlrev_b32_e32 v58, 6, v36
	v_cvt_f32_i32_e32 v9, v58
	v_bfe_i32 v4, v36, 24, 2
	v_or_b32_e32 v4, 1, v4
	s_trap 2
	v_rcp_iflag_f32_e32 v10, v9
	s_waitcnt vmcnt(0)
	v_mul_f32_e32 v5, v7, v10
	v_trunc_f32_e32 v5, v5
	v_cvt_i32_f32_e32 v6, v5
	v_mad_f32 v5, -v5, v9, v7
	v_cmp_ge_f32_e64 vcc, |v5|, |v9|
	v_cndmask_b32_e32 v4, 0, v4, vcc
	v_add_u32_e32 v4, v6, v4
	v_bfe_i32 v60, v4, 0, 16
	v_mul_lo_u32 v8, v58, v60
	ds_read_b64 v[4:5], v0
	v_sub_u32_e32 v23, v32, v8
	v_cmp_gt_i32_e32 vcc, 5, v23
	v_ashrrev_i32_e32 v24, 31, v23
	s_and_saveexec_b64 s[16:17], vcc
	s_cbranch_execz .LBB19_29
; %bb.28:                               ;   in Loop: Header=BB19_4 Depth=1
	v_lshlrev_b64 v[6:7], 2, v[23:24]
	s_getpc_b64 s[18:19]
	s_add_u32 s18, s18, __const.Primitives.roles.9@rel32@lo+4
	s_addc_u32 s19, s19, __const.Primitives.roles.9@rel32@hi+12
	v_mov_b32_e32 v11, s19
	v_add_co_u32_e32 v6, vcc, s18, v6
	v_addc_co_u32_e32 v7, vcc, v11, v7, vcc
	global_load_dword v6, v[6:7], off
	s_waitcnt vmcnt(0)
	v_or_b32_e32 v62, 0x800, v6
.LBB19_29:                              ;   in Loop: Header=BB19_4 Depth=1
	s_or_b64 exec, exec, s[16:17]
	ds_read_b32 v6, v0
	v_lshlrev_b64 v[11:12], v23, 1
	v_cmp_gt_i32_e64 s[16:17], 32, v23
	s_trap 2
	s_waitcnt lgkmcnt(0)
	v_ashrrev_i32_e32 v7, 31, v6
	v_cmp_lt_u64_e32 vcc, v[11:12], v[6:7]
	s_and_b64 s[18:19], s[16:17], vcc
	s_and_saveexec_b64 s[16:17], s[18:19]
	s_cbranch_execz .LBB19_31
; %bb.30:                               ;   in Loop: Header=BB19_4 Depth=1
	v_cvt_f32_u32_e32 v7, v6
	v_sub_u32_e32 v11, 0, v6
	ds_read_b32 v21, v0
	v_lshlrev_b32_e64 v22, v23, 1
	v_rcp_iflag_f32_e32 v7, v7
	s_trap 2
	ds_read_b64 v[15:16], v0
	s_waitcnt lgkmcnt(1)
	v_add_u32_e32 v12, v21, v22
	v_mul_f32_e32 v7, 0x4f7ffffe, v7
	v_cvt_u32_f32_e32 v7, v7
	s_movk_i32 s18, 0x1f8
	v_mov_b32_e32 v35, v34
	v_mul_lo_u32 v11, v11, v7
	v_mul_hi_u32 v11, v7, v11
	v_add_u32_e32 v7, v7, v11
	v_mul_hi_u32 v11, v12, v7
	v_mul_lo_u32 v11, v11, v6
	v_sub_u32_e32 v11, v12, v11
	v_sub_u32_e32 v12, v11, v6
	v_cmp_ge_u32_e32 vcc, v11, v6
	v_cndmask_b32_e32 v11, v11, v12, vcc
	v_sub_u32_e32 v12, v11, v6
	v_cmp_ge_u32_e32 vcc, v11, v6
	v_cndmask_b32_e32 v11, v11, v12, vcc
	v_ashrrev_i32_e32 v12, 31, v11
	v_lshlrev_b64 v[11:12], 3, v[11:12]
	s_waitcnt lgkmcnt(0)
	v_add_co_u32_e32 v11, vcc, v15, v11
	v_addc_co_u32_e32 v12, vcc, v16, v12, vcc
	flat_load_dwordx2 v[17:18], v[11:12]
	s_waitcnt vmcnt(0) lgkmcnt(0)
	v_add_co_u32_e32 v13, vcc, s18, v17
	flat_load_dwordx2 v[11:12], v[17:18] offset:608
	v_addc_co_u32_e32 v14, vcc, 0, v18, vcc
	s_waitcnt vmcnt(0) lgkmcnt(0)
	ds_write2_b64 v0, v[11:12], v[13:14] offset1:1
	flat_load_dwordx2 v[19:20], v[17:18] offset:520
	flat_load_dwordx4 v[11:14], v[17:18] offset:552
	s_waitcnt vmcnt(0) lgkmcnt(0)
	ds_write_b64 v0, v[19:20]
	ds_write_b64 v0, v[11:12]
	flat_load_dwordx2 v[11:12], v[11:12] glc
	v_sub_u32_e32 v19, v6, v22
	v_add_u32_e32 v21, v19, v21
	v_mul_hi_u32 v7, v21, v7
	v_mov_b32_e32 v19, v34
	v_mov_b32_e32 v20, v34
	v_mul_lo_u32 v7, v7, v6
	v_sub_u32_e32 v7, v21, v7
	v_sub_u32_e32 v21, v7, v6
	v_cmp_ge_u32_e32 vcc, v7, v6
	v_cndmask_b32_e32 v7, v7, v21, vcc
	v_sub_u32_e32 v21, v7, v6
	v_cmp_ge_u32_e32 vcc, v7, v6
	v_cndmask_b32_e32 v6, v7, v21, vcc
	v_ashrrev_i32_e32 v7, 31, v6
	v_lshlrev_b64 v[6:7], 3, v[6:7]
	v_add_co_u32_e32 v6, vcc, v15, v6
	v_addc_co_u32_e32 v7, vcc, v16, v7, vcc
	s_waitcnt vmcnt(0) lgkmcnt(0)
	ds_write2_b64 v0, v[11:12], v[19:20] offset1:1
	flat_load_dwordx2 v[6:7], v[6:7]
	s_waitcnt vmcnt(0) lgkmcnt(0)
	flat_load_dwordx2 v[11:12], v[6:7] offset:104
	s_nop 0
	flat_load_dword v17, v[17:18] offset:576
	s_waitcnt vmcnt(0) lgkmcnt(0)
	ds_write2_b64 v0, v[11:12], v[6:7] offset1:1
	flat_load_dwordx2 v[11:12], v[6:7] offset:96
	flat_load_dwordx2 v[15:16], v[6:7] offset:16
	ds_write_b64 v0, v[13:14]
	s_waitcnt vmcnt(0) lgkmcnt(0)
	ds_write2_b64 v0, v[11:12], v[15:16] offset1:1
	flat_load_dwordx4 v[11:14], v[6:7] offset:48
	ds_write_b32 v0, v17
	s_waitcnt vmcnt(0) lgkmcnt(0)
	ds_write_b64 v0, v[13:14]
	flat_load_dwordx2 v[13:14], v[13:14] glc
	s_waitcnt vmcnt(0) lgkmcnt(0)
	ds_write2_b64 v0, v[11:12], v[13:14] offset1:1
	flat_load_dword v6, v[6:7] offset:72
	ds_write_b64 v0, v[34:35]
	s_waitcnt vmcnt(0) lgkmcnt(0)
	ds_write_b32 v0, v6
.LBB19_31:                              ;   in Loop: Header=BB19_4 Depth=1
	s_or_b64 exec, exec, s[16:17]
	v_cmp_eq_u32_e32 vcc, 0, v23
	s_trap 2
	s_and_saveexec_b64 s[16:17], vcc
	s_cbranch_execz .LBB19_33
; %bb.32:                               ;   in Loop: Header=BB19_4 Depth=1
	ds_write2_b64 v0, v[2:3], v[0:1] offset0:87 offset1:88
	ds_write_b64 v0, v[4:5]
	s_trap 2
.LBB19_33:                              ;   in Loop: Header=BB19_4 Depth=1
	s_or_b64 exec, exec, s[16:17]
	buffer_load_dword v0, off, s[0:3], s32 offset:460 ; 4-byte Folded Reload
                                        ; implicit-def: $sgpr56_sgpr57
                                        ; implicit-def: $vgpr48_vgpr49
	s_waitcnt vmcnt(0)
	v_cmp_ne_u32_e64 s[16:17], v58, v0
	s_and_saveexec_b64 s[18:19], s[16:17]
	s_xor_b64 s[18:19], exec, s[18:19]
	s_cbranch_execz .LBB19_49
; %bb.34:                               ;   in Loop: Header=BB19_4 Depth=1
	v_mov_b32_e32 v48, 0
	v_mov_b32_e32 v49, 0
	s_mov_b64 s[56:57], 0
	s_and_saveexec_b64 s[20:21], s[14:15]
	s_cbranch_execz .LBB19_48
; %bb.35:                               ;   in Loop: Header=BB19_4 Depth=1
	s_mov_b64 s[24:25], exec
	v_mbcnt_lo_u32_b32 v0, s24, 0
	v_mbcnt_hi_u32_b32 v0, s25, v0
	v_cmp_eq_u32_e32 vcc, 0, v0
	s_waitcnt lgkmcnt(0)
	buffer_wbinvl1_vol
	s_and_saveexec_b64 s[22:23], vcc
	s_cbranch_execz .LBB19_37
; %bb.36:                               ;   in Loop: Header=BB19_4 Depth=1
	s_bcnt1_i32_b64 s24, s[24:25]
	v_mov_b32_e32 v0, s24
	v_mov_b32_e32 v1, v34
	ds_add_u64 v0, v[0:1]
	s_trap 2
.LBB19_37:                              ;   in Loop: Header=BB19_4 Depth=1
	s_or_b64 exec, exec, s[22:23]
	s_trap 2
	ds_read_b64 v[0:1], v0
	s_waitcnt lgkmcnt(0)
	v_cmp_lt_u64_e32 vcc, 1, v[0:1]
	s_cbranch_vccnz .LBB19_47
; %bb.38:                               ;   in Loop: Header=BB19_4 Depth=1
	s_mov_b32 s60, 0
	s_mov_b64 s[22:23], 0
                                        ; implicit-def: $sgpr24_sgpr25
                                        ; implicit-def: $sgpr26_sgpr27
	s_branch .LBB19_40
.LBB19_39:                              ;   in Loop: Header=BB19_40 Depth=2
	s_or_b64 exec, exec, s[56:57]
	s_and_b64 s[28:29], exec, s[58:59]
	s_or_b64 s[22:23], s[28:29], s[22:23]
	s_andn2_b64 s[24:25], s[24:25], exec
	s_and_b64 s[28:29], s[26:27], exec
	s_or_b64 s[24:25], s[24:25], s[28:29]
	s_andn2_b64 exec, exec, s[22:23]
	s_cbranch_execz .LBB19_44
.LBB19_40:                              ;   Parent Loop BB19_4 Depth=1
                                        ; =>  This Inner Loop Header: Depth=2
	s_add_i32 s60, s60, 1
	s_cmpk_lg_i32 s60, 0x2710
	s_cselect_b64 s[28:29], -1, 0
	s_and_b64 vcc, exec, s[28:29]
	s_cbranch_vccz .LBB19_42
; %bb.41:                               ;   in Loop: Header=BB19_40 Depth=2
	s_mov_b64 s[58:59], -1
	s_or_b64 s[26:27], s[26:27], exec
	s_and_saveexec_b64 s[56:57], s[28:29]
	s_cbranch_execz .LBB19_39
	s_branch .LBB19_43
.LBB19_42:                              ;   in Loop: Header=BB19_40 Depth=2
	s_trap 2
	ds_read_b64 v[0:1], v0
	s_andn2_b64 s[28:29], s[28:29], exec
	s_mov_b32 s60, 0
	s_waitcnt lgkmcnt(0)
	flat_load_dword v0, v[0:1] glc
	s_waitcnt vmcnt(0) lgkmcnt(0)
	buffer_wbinvl1_vol
	v_cmp_eq_u32_e32 vcc, 0, v0
	s_and_b64 s[56:57], vcc, exec
	s_or_b64 s[28:29], s[28:29], s[56:57]
	s_mov_b64 s[58:59], -1
	s_or_b64 s[26:27], s[26:27], exec
	s_and_saveexec_b64 s[56:57], s[28:29]
	s_cbranch_execz .LBB19_39
.LBB19_43:                              ;   in Loop: Header=BB19_40 Depth=2
	s_sleep 1
	s_trap 2
	ds_read_b64 v[0:1], v0
	s_waitcnt lgkmcnt(0)
	s_andn2_b64 s[26:27], s[26:27], exec
	v_cmp_lt_u64_e32 vcc, 1, v[0:1]
	s_orn2_b64 s[58:59], vcc, exec
	s_branch .LBB19_39
.LBB19_44:                              ;   in Loop: Header=BB19_4 Depth=1
	s_or_b64 exec, exec, s[22:23]
	s_and_saveexec_b64 s[22:23], s[24:25]
	s_xor_b64 s[22:23], exec, s[22:23]
	s_cbranch_execz .LBB19_46
; %bb.45:                               ;   in Loop: Header=BB19_4 Depth=1
	ds_write_b32 v0, v56
	s_trap 2
.LBB19_46:                              ;   in Loop: Header=BB19_4 Depth=1
	s_or_b64 exec, exec, s[22:23]
.LBB19_47:                              ;   in Loop: Header=BB19_4 Depth=1
	v_mov_b32_e32 v48, 2
	s_mov_b64 s[56:57], exec
	v_mov_b32_e32 v49, 0
	;;#ASMSTART
	s_wakeup
	;;#ASMEND
.LBB19_48:                              ;   in Loop: Header=BB19_4 Depth=1
	s_or_b64 exec, exec, s[20:21]
.LBB19_49:                              ;   in Loop: Header=BB19_4 Depth=1
	s_andn2_saveexec_b64 s[18:19], s[18:19]
	s_cbranch_execz .LBB19_51
; %bb.50:                               ;   in Loop: Header=BB19_4 Depth=1
	v_mov_b32_e32 v48, 0
	s_andn2_b64 s[20:21], s[56:57], exec
	s_and_b64 s[22:23], s[14:15], exec
	v_mov_b32_e32 v49, 0
	s_or_b64 s[56:57], s[20:21], s[22:23]
	s_waitcnt lgkmcnt(0)
	buffer_wbinvl1_vol
	s_barrier
.LBB19_51:                              ;   in Loop: Header=BB19_4 Depth=1
	s_or_b64 exec, exec, s[18:19]
	v_mul_f32_e32 v2, 0x43000000, v10
	v_trunc_f32_e32 v2, v2
	v_cvt_i32_f32_e32 v3, v2
	s_mov_b32 s18, 0x43000000
	v_and_b32_e32 v0, 0x7fffffff, v9
	v_ashrrev_i32_e32 v1, 30, v58
	v_mad_f32 v2, -v2, v9, s18
	v_or_b32_e32 v1, 1, v1
	v_cmp_ge_f32_e64 vcc, |v2|, v0
	v_cndmask_b32_e32 v0, 0, v1, vcc
	v_add_u32_e32 v59, v3, v0
	v_add_u32_e32 v16, 0x318, v0
	;; [unrolled: 1-line block ×3, first 2 shown]
	v_lshrrev_b32_e32 v0, 26, v24
	v_add_u32_e32 v0, v23, v0
	v_ashrrev_i32_e32 v18, 6, v0
	v_and_b32_e32 v0, 0xffffffc0, v0
	v_sub_u32_e32 v19, v23, v0
	v_lshlrev_b32_e32 v0, 13, v18
	v_lshl_add_u32 v0, v19, 4, v0
	v_ashrrev_i32_e32 v1, 31, v0
	buffer_load_dword v2, off, s[0:3], s32 offset:456 ; 4-byte Folded Reload
	v_add_co_u32_e32 v0, vcc, 0x1c00, v0
	v_addc_co_u32_e32 v1, vcc, 0, v1, vcc
	buffer_store_dword v0, off, s[0:3], s32 offset:448 ; 4-byte Folded Spill
	s_nop 0
	buffer_store_dword v1, off, s[0:3], s32 offset:452 ; 4-byte Folded Spill
	v_cmp_gt_i32_e64 s[18:19], 1, v19
	v_lshlrev_b32_e32 v50, 13, v36
	v_lshlrev_b32_e32 v20, 10, v36
	v_lshlrev_b32_e32 v51, 11, v36
	s_mov_b64 s[58:59], 0
	v_mov_b32_e32 v0, v23
                                        ; implicit-def: $vgpr38_vgpr39
	buffer_store_dword v0, off, s[0:3], s32 offset:416 ; 4-byte Folded Spill
	s_nop 0
	buffer_store_dword v1, off, s[0:3], s32 offset:420 ; 4-byte Folded Spill
	buffer_store_dword v18, off, s[0:3], s32 offset:424 ; 4-byte Folded Spill
	buffer_store_dword v19, off, s[0:3], s32 offset:428 ; 4-byte Folded Spill
	buffer_store_dword v59, off, s[0:3], s32 offset:444 ; 4-byte Folded Spill
	s_waitcnt vmcnt(7)
	v_cmp_eq_u32_e64 s[20:21], v2, v8
	s_branch .LBB19_53
.LBB19_52:                              ;   in Loop: Header=BB19_53 Depth=2
	s_or_b64 exec, exec, s[22:23]
	s_waitcnt lgkmcnt(0)
	v_cmp_ne_u32_e32 vcc, 0, v44
	s_or_b64 s[58:59], vcc, s[58:59]
	v_add_u32_sdwa v60, v60, sext(v59) dst_sel:DWORD dst_unused:UNUSED_PAD src0_sel:DWORD src1_sel:WORD_0
	s_andn2_b64 exec, exec, s[58:59]
	s_cbranch_execz .LBB19_229
.LBB19_53:                              ;   Parent Loop BB19_4 Depth=1
                                        ; =>  This Loop Header: Depth=2
                                        ;       Child Loop BB19_54 Depth 3
                                        ;       Child Loop BB19_86 Depth 3
	;; [unrolled: 1-line block ×12, first 2 shown]
	s_mov_b64 s[22:23], 0
	s_trap 2
.LBB19_54:                              ;   Parent Loop BB19_4 Depth=1
                                        ;     Parent Loop BB19_53 Depth=2
                                        ; =>    This Inner Loop Header: Depth=3
	ds_read_b32 v0, v0 offset:36
	s_waitcnt lgkmcnt(0)
	v_cmp_ne_u32_e32 vcc, 0, v0
	s_or_b64 s[22:23], vcc, s[22:23]
	s_andn2_b64 exec, exec, s[22:23]
	s_cbranch_execnz .LBB19_54
; %bb.55:                               ;   in Loop: Header=BB19_53 Depth=2
	s_or_b64 exec, exec, s[22:23]
	ds_read_b32 v44, v0 offset:32
	v_and_b32_e32 v0, 2, v0
	v_cmp_ne_u32_e32 vcc, 0, v0
	s_and_saveexec_b64 s[22:23], vcc
	s_xor_b64 s[22:23], exec, s[22:23]
	s_cbranch_execnz .LBB19_58
; %bb.56:                               ;   in Loop: Header=BB19_53 Depth=2
	s_andn2_saveexec_b64 s[60:61], s[22:23]
	s_cbranch_execnz .LBB19_64
.LBB19_57:                              ;   in Loop: Header=BB19_53 Depth=2
	s_or_b64 exec, exec, s[60:61]
	s_and_saveexec_b64 s[22:23], s[20:21]
	s_cbranch_execz .LBB19_52
	s_branch .LBB19_203
.LBB19_58:                              ;   in Loop: Header=BB19_53 Depth=2
	s_and_saveexec_b64 s[24:25], s[16:17]
	s_xor_b64 s[24:25], exec, s[24:25]
	s_cbranch_execnz .LBB19_80
; %bb.59:                               ;   in Loop: Header=BB19_53 Depth=2
	s_andn2_saveexec_b64 s[24:25], s[24:25]
	s_cbranch_execnz .LBB19_153
.LBB19_60:                              ;   in Loop: Header=BB19_53 Depth=2
	s_or_b64 exec, exec, s[24:25]
	s_and_saveexec_b64 s[24:25], s[16:17]
	s_xor_b64 s[24:25], exec, s[24:25]
	s_cbranch_execnz .LBB19_154
.LBB19_61:                              ;   in Loop: Header=BB19_53 Depth=2
	s_andn2_saveexec_b64 s[24:25], s[24:25]
	s_cbranch_execz .LBB19_63
.LBB19_62:                              ;   in Loop: Header=BB19_53 Depth=2
	s_waitcnt vmcnt(0) lgkmcnt(0)
	buffer_wbinvl1_vol
	s_barrier
.LBB19_63:                              ;   in Loop: Header=BB19_53 Depth=2
	s_or_b64 exec, exec, s[24:25]
	s_andn2_saveexec_b64 s[60:61], s[22:23]
	s_cbranch_execz .LBB19_57
.LBB19_64:                              ;   in Loop: Header=BB19_53 Depth=2
	ds_read_b64 v[4:5], v0
	ds_read2_b64 v[0:3], v0 offset0:87 offset1:88
	v_mov_b32_e32 v45, -1
	s_waitcnt lgkmcnt(0)
	ds_read_b32 v6, v0 offset:28
	ds_read2_b32 v[24:25], v0 offset0:5 offset1:6
	v_cmp_lt_i32_e32 vcc, -1, v4
	v_and_b32_e32 v4, 36, v62
	v_cmp_ne_u32_e64 s[22:23], 0, v4
	s_and_b64 s[62:63], vcc, s[22:23]
	s_and_saveexec_b64 s[22:23], s[62:63]
	s_cbranch_execz .LBB19_66
; %bb.65:                               ;   in Loop: Header=BB19_53 Depth=2
	s_trap 2
	ds_read_b64 v[38:39], v0
                                        ; implicit-def: $vgpr45
.LBB19_66:                              ;   in Loop: Header=BB19_53 Depth=2
	s_or_b64 exec, exec, s[22:23]
	v_and_b32_e32 v4, 24, v62
	v_cmp_lt_i32_e32 vcc, -1, v5
	v_cmp_ne_u32_e64 s[22:23], 0, v4
	s_and_b64 s[72:73], vcc, s[22:23]
	s_and_saveexec_b64 s[22:23], s[72:73]
	s_cbranch_execz .LBB19_68
; %bb.67:                               ;   in Loop: Header=BB19_53 Depth=2
	s_trap 2
	s_waitcnt lgkmcnt(0)
	ds_read_b64 v[38:39], v0
                                        ; implicit-def: $vgpr45
.LBB19_68:                              ;   in Loop: Header=BB19_53 Depth=2
	s_or_b64 exec, exec, s[22:23]
	v_and_b32_e32 v4, 4, v62
	v_cmp_ne_u32_e32 vcc, 0, v4
	s_waitcnt lgkmcnt(0)
	v_max_i32_e32 v47, 0, v6
	s_and_b64 s[22:23], s[62:63], vcc
	s_and_saveexec_b64 s[24:25], s[22:23]
	s_cbranch_execz .LBB19_98
; %bb.69:                               ;   in Loop: Header=BB19_53 Depth=2
	ds_read2_b32 v[4:5], v0 offset0:2 offset1:4
	ds_read2_b64 v[6:9], v45 offset0:3 offset1:6
	ds_read_b32 v10, v45 offset:64
	s_waitcnt lgkmcnt(0)
	v_add_u32_e32 v11, v38, v5
	v_and_b32_e32 v11, 7, v11
	s_waitcnt lgkmcnt(0)
	v_mad_i64_i32 v[10:11], s[22:23], v11, v10, v[6:7]
	v_ashrrev_i32_e32 v7, 31, v4
	v_mov_b32_e32 v6, v5
	v_add_co_u32_e32 v10, vcc, v10, v4
	v_addc_co_u32_e32 v11, vcc, v11, v7, vcc
	v_add_co_u32_e32 v12, vcc, 1, v38
	v_addc_co_u32_e32 v13, vcc, 0, v39, vcc
	v_ashrrev_i32_e32 v7, 31, v5
	v_add_co_u32_e32 v4, vcc, v12, v5
	v_addc_co_u32_e32 v5, vcc, v13, v7, vcc
	v_cmp_lt_u64_e32 vcc, v[8:9], v[4:5]
	v_mov_b32_e32 v4, v6
	v_mov_b32_e32 v5, v7
	ds_write_b64 v0, v[10:11] offset:720
	s_and_saveexec_b64 s[26:27], vcc
	s_cbranch_execz .LBB19_93
; %bb.70:                               ;   in Loop: Header=BB19_53 Depth=2
	v_and_b32_e32 v7, 64, v62
	s_mov_b32 s35, 0
	v_cmp_eq_u32_e32 vcc, 0, v7
	s_mov_b64 s[28:29], 0
                                        ; implicit-def: $sgpr74_sgpr75
                                        ; implicit-def: $sgpr76_sgpr77
                                        ; implicit-def: $sgpr78_sgpr79
	s_branch .LBB19_73
.LBB19_71:                              ;   in Loop: Header=BB19_73 Depth=3
	s_or_b64 exec, exec, s[30:31]
	s_andn2_b64 s[22:23], s[78:79], exec
	s_and_b64 s[78:79], s[92:93], exec
	s_or_b64 s[78:79], s[22:23], s[78:79]
	s_andn2_b64 s[22:23], s[76:77], exec
	s_and_b64 s[76:77], s[90:91], exec
	s_or_b64 s[76:77], s[22:23], s[76:77]
.LBB19_72:                              ;   in Loop: Header=BB19_73 Depth=3
	s_or_b64 exec, exec, s[88:89]
	s_and_b64 s[22:23], exec, s[76:77]
	s_or_b64 s[28:29], s[22:23], s[28:29]
	s_andn2_b64 s[22:23], s[74:75], exec
	s_and_b64 s[74:75], s[78:79], exec
	s_or_b64 s[74:75], s[22:23], s[74:75]
	s_andn2_b64 exec, exec, s[28:29]
	s_cbranch_execz .LBB19_90
.LBB19_73:                              ;   Parent Loop BB19_4 Depth=1
                                        ;     Parent Loop BB19_53 Depth=2
                                        ; =>    This Inner Loop Header: Depth=3
	s_waitcnt lgkmcnt(0)
	ds_read_b64 v[7:8], v45 offset:40
	v_mov_b32_e32 v11, v5
	s_or_b64 s[78:79], s[78:79], exec
	s_or_b64 s[76:77], s[76:77], exec
	v_mov_b32_e32 v10, v4
	s_waitcnt lgkmcnt(0)
	flat_load_dwordx2 v[8:9], v[7:8] glc
                                        ; implicit-def: $vgpr14
	s_waitcnt vmcnt(0) lgkmcnt(0)
	ds_write_b64 v45, v[8:9] offset:48
	s_and_saveexec_b64 s[88:89], vcc
	s_cbranch_execz .LBB19_72
; %bb.74:                               ;   in Loop: Header=BB19_73 Depth=3
	s_cmpk_gt_i32 s35, 0x270e
	s_mov_b64 s[90:91], -1
	s_cbranch_scc0 .LBB19_78
; %bb.75:                               ;   in Loop: Header=BB19_73 Depth=3
	s_trap 2
	ds_read_b64 v[6:7], v0
	s_mov_b64 s[92:93], 0
	s_mov_b64 s[94:95], 0
                                        ; implicit-def: $vgpr8_vgpr9
	s_waitcnt lgkmcnt(0)
	flat_load_dword v14, v[6:7] glc
	s_waitcnt vmcnt(0) lgkmcnt(0)
	buffer_wbinvl1_vol
                                        ; implicit-def: $vgpr6
	v_cmp_eq_u32_e64 s[22:23], 0, v14
	s_and_saveexec_b64 s[30:31], s[22:23]
	s_cbranch_execz .LBB19_77
; %bb.76:                               ;   in Loop: Header=BB19_73 Depth=3
	ds_read_b64 v[8:9], v45 offset:48
	ds_read_b32 v6, v0 offset:16
	s_mov_b64 s[94:95], exec
.LBB19_77:                              ;   in Loop: Header=BB19_73 Depth=3
	s_or_b64 exec, exec, s[30:31]
	s_mov_b32 s35, 0
                                        ; implicit-def: $vgpr10_vgpr11
	s_and_saveexec_b64 s[30:31], s[94:95]
	s_cbranch_execz .LBB19_71
	s_branch .LBB19_79
.LBB19_78:                              ;   in Loop: Header=BB19_73 Depth=3
	s_add_i32 s35, s35, 1
	s_mov_b64 s[94:95], -1
	s_mov_b64 s[92:93], -1
                                        ; implicit-def: $vgpr14
                                        ; implicit-def: $vgpr10_vgpr11
	s_and_saveexec_b64 s[30:31], s[94:95]
	s_cbranch_execz .LBB19_71
.LBB19_79:                              ;   in Loop: Header=BB19_73 Depth=3
	s_waitcnt lgkmcnt(0)
	v_ashrrev_i32_e32 v7, 31, v6
	v_add_co_u32_e64 v10, s[22:23], v12, v6
	v_addc_co_u32_e64 v11, s[22:23], v13, v7, s[22:23]
	v_cmp_ge_u64_e64 s[22:23], v[8:9], v[10:11]
	v_mov_b32_e32 v11, v7
	s_or_b64 s[92:93], s[92:93], exec
	s_orn2_b64 s[90:91], s[22:23], exec
	v_mov_b32_e32 v10, v6
	s_branch .LBB19_71
.LBB19_80:                              ;   in Loop: Header=BB19_53 Depth=2
	s_and_saveexec_b64 s[26:27], s[56:57]
	s_cbranch_execz .LBB19_152
; %bb.81:                               ;   in Loop: Header=BB19_53 Depth=2
	s_mov_b64 s[60:61], exec
	v_mbcnt_lo_u32_b32 v0, s60, 0
	v_mbcnt_hi_u32_b32 v0, s61, v0
	v_cmp_eq_u32_e32 vcc, 0, v0
	s_waitcnt vmcnt(0) lgkmcnt(0)
	buffer_wbinvl1_vol
	s_and_saveexec_b64 s[28:29], vcc
	s_cbranch_execz .LBB19_83
; %bb.82:                               ;   in Loop: Header=BB19_53 Depth=2
	s_bcnt1_i32_b64 s60, s[60:61]
	v_mov_b32_e32 v0, s60
	v_mov_b32_e32 v1, v34
	ds_add_u64 v0, v[0:1]
	s_trap 2
.LBB19_83:                              ;   in Loop: Header=BB19_53 Depth=2
	s_or_b64 exec, exec, s[28:29]
	s_trap 2
	ds_read_b64 v[0:1], v0
	s_waitcnt lgkmcnt(0)
	v_add_co_u32_e32 v48, vcc, 2, v48
	v_addc_co_u32_e32 v49, vcc, 0, v49, vcc
	v_cmp_lt_u64_e32 vcc, v[0:1], v[48:49]
	s_and_saveexec_b64 s[28:29], vcc
	s_cbranch_execz .LBB19_151
; %bb.84:                               ;   in Loop: Header=BB19_53 Depth=2
	s_mov_b32 s88, 0
	s_mov_b64 s[60:61], 0
                                        ; implicit-def: $sgpr62_sgpr63
                                        ; implicit-def: $sgpr72_sgpr73
	s_branch .LBB19_86
.LBB19_85:                              ;   in Loop: Header=BB19_86 Depth=3
	s_or_b64 exec, exec, s[76:77]
	s_and_b64 s[74:75], exec, s[78:79]
	s_or_b64 s[60:61], s[74:75], s[60:61]
	s_andn2_b64 s[62:63], s[62:63], exec
	s_and_b64 s[74:75], s[72:73], exec
	s_or_b64 s[62:63], s[62:63], s[74:75]
	s_andn2_b64 exec, exec, s[60:61]
	s_cbranch_execz .LBB19_149
.LBB19_86:                              ;   Parent Loop BB19_4 Depth=1
                                        ;     Parent Loop BB19_53 Depth=2
                                        ; =>    This Inner Loop Header: Depth=3
	s_add_i32 s88, s88, 1
	s_cmpk_lg_i32 s88, 0x2710
	s_cselect_b64 s[74:75], -1, 0
	s_and_b64 vcc, exec, s[74:75]
	s_cbranch_vccz .LBB19_88
; %bb.87:                               ;   in Loop: Header=BB19_86 Depth=3
	s_mov_b64 s[78:79], -1
	s_or_b64 s[72:73], s[72:73], exec
	s_and_saveexec_b64 s[76:77], s[74:75]
	s_cbranch_execz .LBB19_85
	s_branch .LBB19_89
.LBB19_88:                              ;   in Loop: Header=BB19_86 Depth=3
	s_trap 2
	ds_read_b64 v[0:1], v0
	s_andn2_b64 s[74:75], s[74:75], exec
	s_mov_b32 s88, 0
	s_waitcnt lgkmcnt(0)
	flat_load_dword v0, v[0:1] glc
	s_waitcnt vmcnt(0) lgkmcnt(0)
	buffer_wbinvl1_vol
	v_cmp_eq_u32_e32 vcc, 0, v0
	s_and_b64 s[76:77], vcc, exec
	s_or_b64 s[74:75], s[74:75], s[76:77]
	s_mov_b64 s[78:79], -1
	s_or_b64 s[72:73], s[72:73], exec
	s_and_saveexec_b64 s[76:77], s[74:75]
	s_cbranch_execz .LBB19_85
.LBB19_89:                              ;   in Loop: Header=BB19_86 Depth=3
	s_sleep 1
	s_trap 2
	ds_read_b64 v[0:1], v0
	s_waitcnt lgkmcnt(0)
	s_andn2_b64 s[72:73], s[72:73], exec
	v_cmp_ge_u64_e32 vcc, v[0:1], v[48:49]
	s_orn2_b64 s[78:79], vcc, exec
	s_branch .LBB19_85
.LBB19_90:                              ;   in Loop: Header=BB19_53 Depth=2
	s_or_b64 exec, exec, s[28:29]
	s_xor_b64 s[22:23], s[74:75], -1
	s_and_saveexec_b64 s[28:29], s[22:23]
	s_xor_b64 s[22:23], exec, s[28:29]
	s_cbranch_execz .LBB19_92
; %bb.91:                               ;   in Loop: Header=BB19_53 Depth=2
	s_waitcnt lgkmcnt(0)
	ds_write_b32 v0, v14
	s_trap 2
	ds_read_b32 v10, v0 offset:16
	v_or_b32_e32 v62, 64, v62
	s_waitcnt lgkmcnt(0)
	v_ashrrev_i32_e32 v11, 31, v10
.LBB19_92:                              ;   in Loop: Header=BB19_53 Depth=2
	s_or_b64 exec, exec, s[22:23]
	v_mov_b32_e32 v4, v10
	v_mov_b32_e32 v5, v11
.LBB19_93:                              ;   in Loop: Header=BB19_53 Depth=2
	s_or_b64 exec, exec, s[26:27]
	s_waitcnt lgkmcnt(0)
	ds_read_b32 v8, v0 offset:8
	s_waitcnt lgkmcnt(1)
	ds_read_b64 v[6:7], v45 offset:56
	ds_read_b32 v10, v45 offset:64
	v_add_co_u32_e32 v4, vcc, v38, v4
	s_waitcnt lgkmcnt(0)
	v_add_u32_e32 v8, v8, v47
	v_ashrrev_i32_e32 v9, 31, v8
	v_addc_co_u32_e32 v11, vcc, v39, v5, vcc
	s_waitcnt lgkmcnt(0)
	v_ashrrev_i32_e32 v5, 31, v10
	v_mul_lo_u32 v12, v4, v5
	v_mad_u64_u32 v[4:5], s[22:23], v4, v10, v[8:9]
	v_mul_lo_u32 v8, v11, v10
	v_add3_u32 v5, v8, v5, v12
	v_cmp_ge_u64_e32 vcc, v[6:7], v[4:5]
                                        ; implicit-def: $vgpr4_vgpr5
	s_and_saveexec_b64 s[22:23], vcc
	s_xor_b64 s[22:23], exec, s[22:23]
; %bb.94:                               ;   in Loop: Header=BB19_53 Depth=2
	ds_read_b64 v[4:5], v0 offset:720
; %bb.95:                               ;   in Loop: Header=BB19_53 Depth=2
	s_andn2_saveexec_b64 s[22:23], s[22:23]
	s_cbranch_execz .LBB19_97
; %bb.96:                               ;   in Loop: Header=BB19_53 Depth=2
	s_waitcnt lgkmcnt(0)
	ds_read_b64 v[4:5], v0 offset:48
	s_waitcnt lgkmcnt(0)
	v_add_co_u32_e32 v4, vcc, v2, v4
	v_addc_co_u32_e32 v5, vcc, v3, v5, vcc
.LBB19_97:                              ;   in Loop: Header=BB19_53 Depth=2
	s_or_b64 exec, exec, s[22:23]
	s_waitcnt lgkmcnt(0)
	ds_write_b64 v16, v[4:5]
.LBB19_98:                              ;   in Loop: Header=BB19_53 Depth=2
	s_or_b64 exec, exec, s[24:25]
	v_and_b32_e32 v4, 8, v62
	v_cmp_ne_u32_e32 vcc, 0, v4
	s_and_b64 s[22:23], s[72:73], vcc
	s_and_saveexec_b64 s[24:25], s[22:23]
	s_cbranch_execz .LBB19_114
; %bb.99:                               ;   in Loop: Header=BB19_53 Depth=2
	ds_read_b64 v[4:5], v45 offset:48
	s_waitcnt lgkmcnt(0)
	v_add_co_u32_e32 v6, vcc, 8, v4
	v_addc_co_u32_e32 v7, vcc, 0, v5, vcc
	v_add_co_u32_e32 v4, vcc, 1, v38
	v_addc_co_u32_e32 v5, vcc, 0, v39, vcc
	v_cmp_lt_u64_e32 vcc, v[6:7], v[4:5]
	s_and_saveexec_b64 s[26:27], vcc
	s_cbranch_execz .LBB19_113
; %bb.100:                              ;   in Loop: Header=BB19_53 Depth=2
	v_and_b32_e32 v6, 64, v62
	s_mov_b32 s35, 0
	v_cmp_eq_u32_e32 vcc, 0, v6
	s_mov_b64 s[28:29], 0
                                        ; implicit-def: $sgpr74_sgpr75
                                        ; implicit-def: $sgpr76_sgpr77
                                        ; implicit-def: $sgpr78_sgpr79
	s_branch .LBB19_103
.LBB19_101:                             ;   in Loop: Header=BB19_103 Depth=3
	s_or_b64 exec, exec, s[30:31]
	s_andn2_b64 s[22:23], s[78:79], exec
	s_and_b64 s[78:79], s[92:93], exec
	s_or_b64 s[78:79], s[22:23], s[78:79]
	s_andn2_b64 s[22:23], s[76:77], exec
	s_and_b64 s[76:77], s[90:91], exec
	s_or_b64 s[76:77], s[22:23], s[76:77]
.LBB19_102:                             ;   in Loop: Header=BB19_103 Depth=3
	s_or_b64 exec, exec, s[88:89]
	s_and_b64 s[22:23], exec, s[76:77]
	s_or_b64 s[28:29], s[22:23], s[28:29]
	s_andn2_b64 s[22:23], s[74:75], exec
	s_and_b64 s[74:75], s[78:79], exec
	s_or_b64 s[74:75], s[22:23], s[74:75]
	s_andn2_b64 exec, exec, s[28:29]
	s_cbranch_execz .LBB19_110
.LBB19_103:                             ;   Parent Loop BB19_4 Depth=1
                                        ;     Parent Loop BB19_53 Depth=2
                                        ; =>    This Inner Loop Header: Depth=3
	s_waitcnt lgkmcnt(0)
	ds_read_b64 v[6:7], v45 offset:32
	s_or_b64 s[78:79], s[78:79], exec
	s_or_b64 s[76:77], s[76:77], exec
                                        ; implicit-def: $vgpr8
	s_waitcnt lgkmcnt(0)
	flat_load_dwordx2 v[6:7], v[6:7] glc
	s_waitcnt vmcnt(0) lgkmcnt(0)
	ds_write_b64 v45, v[6:7] offset:48
	s_and_saveexec_b64 s[88:89], vcc
	s_cbranch_execz .LBB19_102
; %bb.104:                              ;   in Loop: Header=BB19_103 Depth=3
	s_cmpk_gt_i32 s35, 0x270e
	s_mov_b64 s[90:91], -1
	s_cbranch_scc0 .LBB19_108
; %bb.105:                              ;   in Loop: Header=BB19_103 Depth=3
	s_trap 2
	ds_read_b64 v[6:7], v0
	s_mov_b64 s[92:93], 0
	s_mov_b64 s[94:95], 0
	s_waitcnt lgkmcnt(0)
	flat_load_dword v8, v[6:7] glc
	s_waitcnt vmcnt(0) lgkmcnt(0)
	buffer_wbinvl1_vol
                                        ; implicit-def: $vgpr6_vgpr7
	v_cmp_eq_u32_e64 s[22:23], 0, v8
	s_and_saveexec_b64 s[30:31], s[22:23]
; %bb.106:                              ;   in Loop: Header=BB19_103 Depth=3
	ds_read_b64 v[6:7], v45 offset:48
	s_mov_b64 s[94:95], exec
; %bb.107:                              ;   in Loop: Header=BB19_103 Depth=3
	s_or_b64 exec, exec, s[30:31]
	s_mov_b32 s35, 0
	s_and_saveexec_b64 s[30:31], s[94:95]
	s_cbranch_execz .LBB19_101
	s_branch .LBB19_109
.LBB19_108:                             ;   in Loop: Header=BB19_103 Depth=3
	s_add_i32 s35, s35, 1
	s_mov_b64 s[94:95], -1
	s_mov_b64 s[92:93], -1
                                        ; implicit-def: $vgpr8
	s_and_saveexec_b64 s[30:31], s[94:95]
	s_cbranch_execz .LBB19_101
.LBB19_109:                             ;   in Loop: Header=BB19_103 Depth=3
	s_waitcnt lgkmcnt(0)
	v_add_co_u32_e64 v6, s[22:23], 8, v6
	v_addc_co_u32_e64 v7, s[22:23], 0, v7, s[22:23]
	v_cmp_ge_u64_e64 s[22:23], v[6:7], v[4:5]
	s_or_b64 s[92:93], s[92:93], exec
	s_orn2_b64 s[90:91], s[22:23], exec
	s_branch .LBB19_101
.LBB19_110:                             ;   in Loop: Header=BB19_53 Depth=2
	s_or_b64 exec, exec, s[28:29]
	s_xor_b64 s[22:23], s[74:75], -1
	s_and_saveexec_b64 s[28:29], s[22:23]
	s_xor_b64 s[22:23], exec, s[28:29]
	s_cbranch_execz .LBB19_112
; %bb.111:                              ;   in Loop: Header=BB19_53 Depth=2
	v_or_b32_e32 v62, 64, v62
	s_waitcnt lgkmcnt(0)
	ds_write_b32 v0, v8
	s_trap 2
.LBB19_112:                             ;   in Loop: Header=BB19_53 Depth=2
	s_or_b64 exec, exec, s[22:23]
.LBB19_113:                             ;   in Loop: Header=BB19_53 Depth=2
	s_or_b64 exec, exec, s[26:27]
	ds_read_b64 v[4:5], v45 offset:24
	s_waitcnt lgkmcnt(0)
	ds_read_b32 v6, v45 offset:64
	ds_read_b32 v7, v0 offset:12
	v_and_b32_e32 v8, 7, v38
	s_waitcnt lgkmcnt(0)
	v_mad_i64_i32 v[4:5], s[22:23], v8, v6, v[4:5]
	s_waitcnt lgkmcnt(0)
	v_ashrrev_i32_e32 v6, 31, v7
	v_add_co_u32_e32 v4, vcc, v4, v7
	v_addc_co_u32_e32 v5, vcc, v5, v6, vcc
	ds_write_b64 v17, v[4:5]
.LBB19_114:                             ;   in Loop: Header=BB19_53 Depth=2
	s_or_b64 exec, exec, s[24:25]
	s_trap 2
	ds_read_b32 v4, v0
	ds_read_b64 v[54:55], v0
	v_and_b32_e32 v5, 1, v62
	v_cmp_eq_u32_e64 s[22:23], 1, v5
	s_waitcnt lgkmcnt(0)
	v_cmp_gt_i32_e32 vcc, 0, v4
	s_and_b64 s[26:27], vcc, s[22:23]
	s_and_saveexec_b64 s[24:25], s[26:27]
	s_cbranch_execnz .LBB19_124
; %bb.115:                              ;   in Loop: Header=BB19_53 Depth=2
	s_or_b64 exec, exec, s[24:25]
	s_and_saveexec_b64 s[24:25], s[16:17]
	s_xor_b64 s[24:25], exec, s[24:25]
	s_cbranch_execnz .LBB19_127
.LBB19_116:                             ;   in Loop: Header=BB19_53 Depth=2
	s_andn2_saveexec_b64 s[24:25], s[24:25]
	s_cbranch_execz .LBB19_118
.LBB19_117:                             ;   in Loop: Header=BB19_53 Depth=2
	s_waitcnt vmcnt(0) lgkmcnt(0)
	buffer_wbinvl1_vol
	s_barrier
.LBB19_118:                             ;   in Loop: Header=BB19_53 Depth=2
	s_or_b64 exec, exec, s[24:25]
	ds_read_b32 v5, v0 offset:4
	ds_read2_b64 v[0:3], v0 offset0:90 offset1:99
	s_trap 2
	s_mov_b64 s[28:29], -1
	s_waitcnt lgkmcnt(0)
	ds_read_b32 v4, v0
	s_and_saveexec_b64 s[24:25], s[18:19]
	s_cbranch_execz .LBB19_120
; %bb.119:                              ;   in Loop: Header=BB19_53 Depth=2
	v_lshl_add_u32 v6, v19, 3, v0
	ds_read_b32 v6, v6 offset:720
	s_waitcnt lgkmcnt(0)
	v_and_b32_e32 v6, 15, v6
	v_cmp_eq_u32_e32 vcc, 0, v6
	s_orn2_b64 s[28:29], vcc, exec
.LBB19_120:                             ;   in Loop: Header=BB19_53 Depth=2
	s_or_b64 exec, exec, s[24:25]
	v_cmp_gt_i32_e64 s[24:25], 0, v5
	v_cmp_eq_u64_e32 vcc, v[0:1], v[2:3]
	v_cndmask_b32_e64 v5, 2, 1, s[24:25]
	v_subbrev_co_u32_e32 v46, vcc, 0, v5, vcc
	v_cndmask_b32_e64 v61, v17, v16, s[24:25]
	v_cmp_lt_i32_e32 vcc, v19, v46
	s_and_saveexec_b64 s[26:27], vcc
	s_cbranch_execz .LBB19_122
; %bb.121:                              ;   in Loop: Header=BB19_53 Depth=2
	v_lshl_add_u32 v2, v19, 3, v61
	ds_read_b32 v2, v2
	s_waitcnt lgkmcnt(0)
	v_and_b32_e32 v2, 15, v2
	v_cmp_eq_u32_e32 vcc, 0, v2
	s_and_b64 s[74:75], s[28:29], vcc
	s_andn2_b64 s[28:29], s[28:29], exec
	s_and_b64 s[74:75], s[74:75], exec
	s_or_b64 s[28:29], s[28:29], s[74:75]
.LBB19_122:                             ;   in Loop: Header=BB19_53 Depth=2
	s_or_b64 exec, exec, s[26:27]
	s_xor_b64 s[28:29], s[28:29], -1
	s_waitcnt lgkmcnt(0)
	v_cmp_eq_u32_e32 vcc, 0, v4
	v_cndmask_b32_e64 v2, 0, 1, s[28:29]
	v_cndmask_b32_e32 v37, 0, v47, vcc
	s_mov_b64 s[26:27], -1
	v_cmp_ne_u32_e32 vcc, 0, v2
	v_mov_b32_e32 v8, 0
	s_cbranch_vccz .LBB19_137
; %bb.123:                              ;   in Loop: Header=BB19_53 Depth=2
	v_mov_b32_e32 v9, v23
	v_mov_b32_e32 v4, v18
	s_and_saveexec_b64 s[28:29], s[26:27]
	s_cbranch_execnz .LBB19_177
	s_branch .LBB19_189
.LBB19_124:                             ;   in Loop: Header=BB19_53 Depth=2
	ds_read_b64 v[4:5], v0 offset:40
	s_waitcnt lgkmcnt(0)
	v_add_co_u32_e32 v0, vcc, v0, v4
	v_addc_co_u32_e32 v1, vcc, v1, v5, vcc
	v_add_co_u32_e32 v4, vcc, v4, v47
	v_addc_co_u32_e32 v5, vcc, 0, v5, vcc
	v_cmp_lt_u64_e32 vcc, v[54:55], v[4:5]
	ds_write_b64 v0, v[0:1] offset:720
	s_and_saveexec_b64 s[26:27], vcc
	s_cbranch_execz .LBB19_126
; %bb.125:                              ;   in Loop: Header=BB19_53 Depth=2
	ds_read_b64 v[0:1], v0 offset:48
	v_mov_b32_e32 v55, v5
	v_mov_b32_e32 v54, v4
	s_waitcnt lgkmcnt(0)
	v_add_co_u32_e32 v0, vcc, v2, v0
	v_addc_co_u32_e32 v1, vcc, v3, v1, vcc
.LBB19_126:                             ;   in Loop: Header=BB19_53 Depth=2
	s_or_b64 exec, exec, s[26:27]
	ds_write_b64 v16, v[0:1]
	s_or_b64 exec, exec, s[24:25]
	s_and_saveexec_b64 s[24:25], s[16:17]
	s_xor_b64 s[24:25], exec, s[24:25]
	s_cbranch_execz .LBB19_116
.LBB19_127:                             ;   in Loop: Header=BB19_53 Depth=2
	s_and_saveexec_b64 s[26:27], s[56:57]
	s_cbranch_execz .LBB19_167
; %bb.128:                              ;   in Loop: Header=BB19_53 Depth=2
	s_mov_b64 s[74:75], exec
	v_mbcnt_lo_u32_b32 v0, s74, 0
	v_mbcnt_hi_u32_b32 v0, s75, v0
	v_cmp_eq_u32_e32 vcc, 0, v0
	s_waitcnt vmcnt(0) lgkmcnt(0)
	buffer_wbinvl1_vol
	s_and_saveexec_b64 s[28:29], vcc
	s_cbranch_execz .LBB19_130
; %bb.129:                              ;   in Loop: Header=BB19_53 Depth=2
	s_bcnt1_i32_b64 s74, s[74:75]
	v_mov_b32_e32 v0, s74
	v_mov_b32_e32 v1, v34
	ds_add_u64 v0, v[0:1]
	s_trap 2
.LBB19_130:                             ;   in Loop: Header=BB19_53 Depth=2
	s_or_b64 exec, exec, s[28:29]
	s_trap 2
	ds_read_b64 v[0:1], v0
	s_waitcnt lgkmcnt(0)
	v_add_co_u32_e32 v48, vcc, 2, v48
	v_addc_co_u32_e32 v49, vcc, 0, v49, vcc
	v_cmp_lt_u64_e32 vcc, v[0:1], v[48:49]
	s_and_saveexec_b64 s[28:29], vcc
	s_cbranch_execz .LBB19_166
; %bb.131:                              ;   in Loop: Header=BB19_53 Depth=2
	s_mov_b32 s94, 0
	s_mov_b64 s[74:75], 0
                                        ; implicit-def: $sgpr76_sgpr77
                                        ; implicit-def: $sgpr78_sgpr79
	s_branch .LBB19_133
.LBB19_132:                             ;   in Loop: Header=BB19_133 Depth=3
	s_or_b64 exec, exec, s[90:91]
	s_and_b64 s[88:89], exec, s[92:93]
	s_or_b64 s[74:75], s[88:89], s[74:75]
	s_andn2_b64 s[76:77], s[76:77], exec
	s_and_b64 s[88:89], s[78:79], exec
	s_or_b64 s[76:77], s[76:77], s[88:89]
	s_andn2_b64 exec, exec, s[74:75]
	s_cbranch_execz .LBB19_164
.LBB19_133:                             ;   Parent Loop BB19_4 Depth=1
                                        ;     Parent Loop BB19_53 Depth=2
                                        ; =>    This Inner Loop Header: Depth=3
	s_add_i32 s94, s94, 1
	s_cmpk_lg_i32 s94, 0x2710
	s_cselect_b64 s[88:89], -1, 0
	s_and_b64 vcc, exec, s[88:89]
	s_cbranch_vccz .LBB19_135
; %bb.134:                              ;   in Loop: Header=BB19_133 Depth=3
	s_mov_b64 s[92:93], -1
	s_or_b64 s[78:79], s[78:79], exec
	s_and_saveexec_b64 s[90:91], s[88:89]
	s_cbranch_execz .LBB19_132
	s_branch .LBB19_136
.LBB19_135:                             ;   in Loop: Header=BB19_133 Depth=3
	s_trap 2
	ds_read_b64 v[0:1], v0
	s_andn2_b64 s[88:89], s[88:89], exec
	s_mov_b32 s94, 0
	s_waitcnt lgkmcnt(0)
	flat_load_dword v0, v[0:1] glc
	s_waitcnt vmcnt(0) lgkmcnt(0)
	buffer_wbinvl1_vol
	v_cmp_eq_u32_e32 vcc, 0, v0
	s_and_b64 s[90:91], vcc, exec
	s_or_b64 s[88:89], s[88:89], s[90:91]
	s_mov_b64 s[92:93], -1
	s_or_b64 s[78:79], s[78:79], exec
	s_and_saveexec_b64 s[90:91], s[88:89]
	s_cbranch_execz .LBB19_132
.LBB19_136:                             ;   in Loop: Header=BB19_133 Depth=3
	s_sleep 1
	s_trap 2
	ds_read_b64 v[0:1], v0
	s_waitcnt lgkmcnt(0)
	s_andn2_b64 s[78:79], s[78:79], exec
	v_cmp_ge_u64_e32 vcc, v[0:1], v[48:49]
	s_orn2_b64 s[92:93], vcc, exec
	s_branch .LBB19_132
.LBB19_137:                             ;   in Loop: Header=BB19_53 Depth=2
	v_lshrrev_b32_e32 v2, 13, v37
	v_sub_u32_e32 v35, v2, v18
	v_cmp_lt_i32_e32 vcc, 0, v35
	s_and_saveexec_b64 s[28:29], vcc
	s_cbranch_execz .LBB19_143
; %bb.138:                              ;   in Loop: Header=BB19_53 Depth=2
	buffer_store_dword v24, off, s[0:3], s32 offset:408 ; 4-byte Folded Spill
	s_nop 0
	buffer_store_dword v25, off, s[0:3], s32 offset:412 ; 4-byte Folded Spill
	ds_read_b64 v[40:41], v61
	buffer_load_dword v42, off, s[0:3], s32 offset:448 ; 4-byte Folded Reload
	buffer_load_dword v43, off, s[0:3], s32 offset:452 ; 4-byte Folded Reload
	v_cmp_lt_u32_e64 s[26:27], 1, v46
	s_mov_b64 s[74:75], 0
	s_branch .LBB19_140
.LBB19_139:                             ;   in Loop: Header=BB19_140 Depth=3
	s_or_b64 exec, exec, s[76:77]
	v_sub_u32_e32 v35, v35, v36
	v_cmp_gt_i32_e32 vcc, 1, v35
	s_or_b64 s[74:75], vcc, s[74:75]
	v_ashrrev_i32_e32 v2, 31, v50
	v_add_co_u32_e32 v42, vcc, v42, v50
	v_addc_co_u32_e32 v43, vcc, v43, v2, vcc
	s_andn2_b64 exec, exec, s[74:75]
	s_cbranch_execz .LBB19_142
.LBB19_140:                             ;   Parent Loop BB19_4 Depth=1
                                        ;     Parent Loop BB19_53 Depth=2
                                        ; =>    This Inner Loop Header: Depth=3
	s_waitcnt vmcnt(0)
	v_add_co_u32_e32 v2, vcc, v0, v42
	s_waitcnt vmcnt(0)
	v_addc_co_u32_e32 v3, vcc, v1, v43, vcc
	v_add_co_u32_e32 v4, vcc, 0xfffff000, v2
	v_addc_co_u32_e32 v5, vcc, -1, v3, vcc
	global_load_dwordx4 v[30:33], v[4:5], off offset:-3072 glc slc
	global_load_dwordx4 v[26:29], v[4:5], off offset:-2048 glc slc
	global_load_dwordx4 v[22:25], v[4:5], off offset:-1024 glc slc
	global_load_dwordx4 v[18:21], v[2:3], off offset:-4096 glc slc
	global_load_dwordx4 v[14:17], v[2:3], off offset:-3072 glc slc
	global_load_dwordx4 v[10:13], v[2:3], off offset:-2048 glc slc
	global_load_dwordx4 v[6:9], v[2:3], off offset:-1024 glc slc
	s_nop 0
	global_load_dwordx4 v[2:5], v[2:3], off glc slc
	s_waitcnt lgkmcnt(0)
	v_add_co_u32_e32 v52, vcc, v40, v42
	v_addc_co_u32_e32 v53, vcc, v41, v43, vcc
	v_add_co_u32_e32 v56, vcc, 0xfffff000, v52
	v_addc_co_u32_e32 v57, vcc, -1, v53, vcc
	s_waitcnt vmcnt(7)
	global_store_dwordx4 v[56:57], v[30:33], off offset:-3072 glc slc
	s_waitcnt vmcnt(7)
	global_store_dwordx4 v[56:57], v[26:29], off offset:-2048 glc slc
	;; [unrolled: 2-line block ×7, first 2 shown]
	s_waitcnt vmcnt(7)
	global_store_dwordx4 v[52:53], v[2:5], off glc slc
	s_and_saveexec_b64 s[76:77], s[26:27]
	s_cbranch_execz .LBB19_139
; %bb.141:                              ;   in Loop: Header=BB19_140 Depth=3
	ds_read_b64 v[52:53], v61 offset:8
	s_waitcnt lgkmcnt(0)
	v_add_co_u32_e32 v52, vcc, v42, v52
	v_addc_co_u32_e32 v53, vcc, v43, v53, vcc
	v_add_co_u32_e32 v56, vcc, 0xfffff000, v52
	v_addc_co_u32_e32 v57, vcc, -1, v53, vcc
	global_store_dwordx4 v[56:57], v[30:33], off offset:-3072 glc slc
	global_store_dwordx4 v[56:57], v[26:29], off offset:-2048 glc slc
	;; [unrolled: 1-line block ×7, first 2 shown]
	global_store_dwordx4 v[52:53], v[2:5], off glc slc
	s_branch .LBB19_139
.LBB19_142:                             ;   in Loop: Header=BB19_53 Depth=2
	s_or_b64 exec, exec, s[74:75]
	buffer_load_dword v23, off, s[0:3], s32 offset:416 ; 4-byte Folded Reload
	buffer_load_dword v24, off, s[0:3], s32 offset:420 ; 4-byte Folded Reload
	;; [unrolled: 1-line block ×6, first 2 shown]
	v_mov_b32_e32 v56, 1
	v_add_u32_e32 v16, 0x318, v0
	v_add_u32_e32 v17, 0x310, v0
	v_lshlrev_b32_e32 v20, 10, v36
	v_mov_b32_e32 v33, 2
	v_mov_b32_e32 v52, -1
.LBB19_143:                             ;   in Loop: Header=BB19_53 Depth=2
	s_or_b64 exec, exec, s[28:29]
	v_and_b32_e32 v3, 0x1fff, v37
	v_mov_b32_e32 v8, 0
	v_cmp_ne_u32_e32 vcc, 0, v3
	s_mov_b64 s[26:27], 0
                                        ; implicit-def: $vgpr2
                                        ; implicit-def: $vgpr9
                                        ; implicit-def: $vgpr4
	s_and_saveexec_b64 s[74:75], vcc
	s_cbranch_execz .LBB19_176
; %bb.144:                              ;   in Loop: Header=BB19_53 Depth=2
	v_lshlrev_b32_e32 v2, 6, v35
	s_waitcnt vmcnt(0)
	v_sub_u32_e32 v2, v19, v2
	v_ashrrev_i32_e32 v4, 31, v2
	v_lshrrev_b32_e32 v4, 26, v4
	v_add_u32_e32 v4, v2, v4
	v_ashrrev_i32_e32 v5, 6, v4
	v_and_b32_e32 v4, 0xffffffc0, v4
	v_sub_u32_e32 v10, v2, v4
	v_lshlrev_b32_e32 v2, 4, v10
	v_lshl_add_u32 v2, v5, 10, v2
	v_and_b32_e32 v8, 0x3ff, v37
	v_sub_u32_e32 v9, v3, v2
	v_lshrrev_b32_e32 v3, 10, v3
	v_cmp_lt_u32_e32 vcc, 15, v8
	v_addc_co_u32_e64 v3, s[26:27], 0, v3, vcc
	v_sub_u32_e32 v11, v3, v5
	v_cmp_lt_i32_e64 s[26:27], 15, v9
	s_and_saveexec_b64 s[76:77], s[26:27]
	s_cbranch_execz .LBB19_173
; %bb.145:                              ;   in Loop: Header=BB19_53 Depth=2
	ds_read_b64 v[6:7], v61
	v_and_b32_e32 v3, 0x7fffe000, v37
	v_add_u32_e32 v12, v2, v3
	v_ashrrev_i32_e32 v13, 31, v12
	v_cmp_lt_u32_e64 s[26:27], 1, v46
	s_mov_b64 s[78:79], 0
	s_branch .LBB19_147
.LBB19_146:                             ;   in Loop: Header=BB19_147 Depth=3
	s_or_b64 exec, exec, s[88:89]
	v_sub_u32_e32 v9, v9, v20
	v_cmp_gt_i32_e64 s[28:29], 16, v9
	s_or_b64 s[78:79], s[28:29], s[78:79]
	v_ashrrev_i32_e32 v2, 31, v20
	v_add_co_u32_e64 v12, s[28:29], v12, v20
	v_sub_u32_e32 v11, v11, v36
	v_addc_co_u32_e64 v13, s[28:29], v13, v2, s[28:29]
	s_andn2_b64 exec, exec, s[78:79]
	s_cbranch_execz .LBB19_172
.LBB19_147:                             ;   Parent Loop BB19_4 Depth=1
                                        ;     Parent Loop BB19_53 Depth=2
                                        ; =>    This Inner Loop Header: Depth=3
	v_add_co_u32_e64 v2, s[28:29], v0, v12
	v_addc_co_u32_e64 v3, s[28:29], v1, v13, s[28:29]
	global_load_dwordx4 v[2:5], v[2:3], off glc slc
	s_waitcnt lgkmcnt(0)
	v_add_co_u32_e64 v14, s[28:29], v6, v12
	v_addc_co_u32_e64 v15, s[28:29], v7, v13, s[28:29]
	s_waitcnt vmcnt(0)
	global_store_dwordx4 v[14:15], v[2:5], off glc slc
	s_and_saveexec_b64 s[88:89], s[26:27]
	s_cbranch_execz .LBB19_146
; %bb.148:                              ;   in Loop: Header=BB19_147 Depth=3
	ds_read_b64 v[14:15], v61 offset:8
	s_waitcnt lgkmcnt(0)
	v_add_co_u32_e64 v14, s[28:29], v12, v14
	v_addc_co_u32_e64 v15, s[28:29], v13, v15, s[28:29]
	global_store_dwordx4 v[14:15], v[2:5], off glc slc
	s_branch .LBB19_146
.LBB19_149:                             ;   in Loop: Header=BB19_53 Depth=2
	s_or_b64 exec, exec, s[60:61]
	s_and_saveexec_b64 s[60:61], s[62:63]
	s_xor_b64 s[60:61], exec, s[60:61]
	s_cbranch_execz .LBB19_151
; %bb.150:                              ;   in Loop: Header=BB19_53 Depth=2
	ds_write_b32 v0, v56
	s_trap 2
.LBB19_151:                             ;   in Loop: Header=BB19_53 Depth=2
	s_or_b64 exec, exec, s[28:29]
	;;#ASMSTART
	s_wakeup
	;;#ASMEND
.LBB19_152:                             ;   in Loop: Header=BB19_53 Depth=2
	s_or_b64 exec, exec, s[26:27]
	s_andn2_saveexec_b64 s[24:25], s[24:25]
	s_cbranch_execz .LBB19_60
.LBB19_153:                             ;   in Loop: Header=BB19_53 Depth=2
	s_waitcnt vmcnt(0) lgkmcnt(0)
	buffer_wbinvl1_vol
	s_barrier
	s_or_b64 exec, exec, s[24:25]
	s_and_saveexec_b64 s[24:25], s[16:17]
	s_xor_b64 s[24:25], exec, s[24:25]
	s_cbranch_execz .LBB19_61
.LBB19_154:                             ;   in Loop: Header=BB19_53 Depth=2
	s_and_saveexec_b64 s[26:27], s[56:57]
	s_cbranch_execz .LBB19_171
; %bb.155:                              ;   in Loop: Header=BB19_53 Depth=2
	s_mov_b64 s[60:61], exec
	v_mbcnt_lo_u32_b32 v0, s60, 0
	v_mbcnt_hi_u32_b32 v0, s61, v0
	v_cmp_eq_u32_e32 vcc, 0, v0
	s_waitcnt vmcnt(0) lgkmcnt(0)
	buffer_wbinvl1_vol
	s_and_saveexec_b64 s[28:29], vcc
	s_cbranch_execz .LBB19_157
; %bb.156:                              ;   in Loop: Header=BB19_53 Depth=2
	s_bcnt1_i32_b64 s60, s[60:61]
	v_mov_b32_e32 v0, s60
	v_mov_b32_e32 v1, v34
	ds_add_u64 v0, v[0:1]
	s_trap 2
.LBB19_157:                             ;   in Loop: Header=BB19_53 Depth=2
	s_or_b64 exec, exec, s[28:29]
	s_trap 2
	ds_read_b64 v[0:1], v0
	s_waitcnt lgkmcnt(0)
	v_add_co_u32_e32 v48, vcc, 2, v48
	v_addc_co_u32_e32 v49, vcc, 0, v49, vcc
	v_cmp_lt_u64_e32 vcc, v[0:1], v[48:49]
	s_and_saveexec_b64 s[28:29], vcc
	s_cbranch_execz .LBB19_170
; %bb.158:                              ;   in Loop: Header=BB19_53 Depth=2
	s_mov_b32 s88, 0
	s_mov_b64 s[60:61], 0
                                        ; implicit-def: $sgpr62_sgpr63
                                        ; implicit-def: $sgpr72_sgpr73
	s_branch .LBB19_160
.LBB19_159:                             ;   in Loop: Header=BB19_160 Depth=3
	s_or_b64 exec, exec, s[76:77]
	s_and_b64 s[74:75], exec, s[78:79]
	s_or_b64 s[60:61], s[74:75], s[60:61]
	s_andn2_b64 s[62:63], s[62:63], exec
	s_and_b64 s[74:75], s[72:73], exec
	s_or_b64 s[62:63], s[62:63], s[74:75]
	s_andn2_b64 exec, exec, s[60:61]
	s_cbranch_execz .LBB19_168
.LBB19_160:                             ;   Parent Loop BB19_4 Depth=1
                                        ;     Parent Loop BB19_53 Depth=2
                                        ; =>    This Inner Loop Header: Depth=3
	s_add_i32 s88, s88, 1
	s_cmpk_lg_i32 s88, 0x2710
	s_cselect_b64 s[74:75], -1, 0
	s_and_b64 vcc, exec, s[74:75]
	s_cbranch_vccz .LBB19_162
; %bb.161:                              ;   in Loop: Header=BB19_160 Depth=3
	s_mov_b64 s[78:79], -1
	s_or_b64 s[72:73], s[72:73], exec
	s_and_saveexec_b64 s[76:77], s[74:75]
	s_cbranch_execz .LBB19_159
	s_branch .LBB19_163
.LBB19_162:                             ;   in Loop: Header=BB19_160 Depth=3
	s_trap 2
	ds_read_b64 v[0:1], v0
	s_andn2_b64 s[74:75], s[74:75], exec
	s_mov_b32 s88, 0
	s_waitcnt lgkmcnt(0)
	flat_load_dword v0, v[0:1] glc
	s_waitcnt vmcnt(0) lgkmcnt(0)
	buffer_wbinvl1_vol
	v_cmp_eq_u32_e32 vcc, 0, v0
	s_and_b64 s[76:77], vcc, exec
	s_or_b64 s[74:75], s[74:75], s[76:77]
	s_mov_b64 s[78:79], -1
	s_or_b64 s[72:73], s[72:73], exec
	s_and_saveexec_b64 s[76:77], s[74:75]
	s_cbranch_execz .LBB19_159
.LBB19_163:                             ;   in Loop: Header=BB19_160 Depth=3
	s_sleep 1
	s_trap 2
	ds_read_b64 v[0:1], v0
	s_waitcnt lgkmcnt(0)
	s_andn2_b64 s[72:73], s[72:73], exec
	v_cmp_ge_u64_e32 vcc, v[0:1], v[48:49]
	s_orn2_b64 s[78:79], vcc, exec
	s_branch .LBB19_159
.LBB19_164:                             ;   in Loop: Header=BB19_53 Depth=2
	s_or_b64 exec, exec, s[74:75]
	s_and_saveexec_b64 s[74:75], s[76:77]
	s_xor_b64 s[74:75], exec, s[74:75]
	s_cbranch_execz .LBB19_166
; %bb.165:                              ;   in Loop: Header=BB19_53 Depth=2
	ds_write_b32 v0, v56
	s_trap 2
.LBB19_166:                             ;   in Loop: Header=BB19_53 Depth=2
	s_or_b64 exec, exec, s[28:29]
	;;#ASMSTART
	s_wakeup
	;;#ASMEND
.LBB19_167:                             ;   in Loop: Header=BB19_53 Depth=2
	s_or_b64 exec, exec, s[26:27]
	s_andn2_saveexec_b64 s[24:25], s[24:25]
	s_cbranch_execnz .LBB19_117
	s_branch .LBB19_118
.LBB19_168:                             ;   in Loop: Header=BB19_53 Depth=2
	s_or_b64 exec, exec, s[60:61]
	s_and_saveexec_b64 s[60:61], s[62:63]
	s_xor_b64 s[60:61], exec, s[60:61]
	s_cbranch_execz .LBB19_170
; %bb.169:                              ;   in Loop: Header=BB19_53 Depth=2
	ds_write_b32 v0, v56
	s_trap 2
.LBB19_170:                             ;   in Loop: Header=BB19_53 Depth=2
	s_or_b64 exec, exec, s[28:29]
	;;#ASMSTART
	s_wakeup
	;;#ASMEND
.LBB19_171:                             ;   in Loop: Header=BB19_53 Depth=2
	s_or_b64 exec, exec, s[26:27]
	s_andn2_saveexec_b64 s[24:25], s[24:25]
	s_cbranch_execnz .LBB19_62
	s_branch .LBB19_63
.LBB19_172:                             ;   in Loop: Header=BB19_53 Depth=2
	s_or_b64 exec, exec, s[78:79]
.LBB19_173:                             ;   in Loop: Header=BB19_53 Depth=2
	s_or_b64 exec, exec, s[76:77]
	v_and_b32_e32 v2, 15, v37
	v_cndmask_b32_e32 v2, v8, v2, vcc
	v_mov_b32_e32 v8, 0
	v_cmp_ne_u32_e64 s[26:27], 0, v2
	s_mov_b64 s[28:29], 0
                                        ; implicit-def: $vgpr9
                                        ; implicit-def: $vgpr4
	s_and_saveexec_b64 s[76:77], s[26:27]
	s_cbranch_execz .LBB19_175
; %bb.174:                              ;   in Loop: Header=BB19_53 Depth=2
	v_mov_b32_e32 v3, 0x7ffffc00
	v_mov_b32_e32 v4, 0x7ffffff0
	v_cndmask_b32_e32 v3, v3, v4, vcc
	v_cmp_lt_i32_e32 vcc, 0, v11
	v_and_b32_e32 v8, v3, v37
	v_cndmask_b32_e32 v3, 0, v36, vcc
	v_sub_u32_e32 v3, v3, v11
	v_lshl_add_u32 v9, v3, 6, v10
	v_ashrrev_i32_e32 v3, 31, v9
	v_lshrrev_b32_e32 v3, 26, v3
	v_add_u32_e32 v3, v9, v3
	s_mov_b64 s[28:29], exec
	v_ashrrev_i32_e32 v4, 6, v3
.LBB19_175:                             ;   in Loop: Header=BB19_53 Depth=2
	s_or_b64 exec, exec, s[76:77]
	s_and_b64 s[26:27], s[28:29], exec
.LBB19_176:                             ;   in Loop: Header=BB19_53 Depth=2
	s_or_b64 exec, exec, s[74:75]
	v_mov_b32_e32 v37, v2
	s_and_saveexec_b64 s[28:29], s[26:27]
	s_cbranch_execz .LBB19_189
.LBB19_177:                             ;   in Loop: Header=BB19_53 Depth=2
	v_lshrrev_b32_e32 v2, 11, v37
	v_sub_u32_e32 v10, v2, v4
	v_ashrrev_i32_e32 v2, 31, v9
	v_cmp_lt_i32_e32 vcc, 0, v10
	v_lshrrev_b32_e32 v6, 26, v2
	s_and_saveexec_b64 s[74:75], vcc
	s_cbranch_execz .LBB19_183
; %bb.178:                              ;   in Loop: Header=BB19_53 Depth=2
	s_waitcnt vmcnt(0)
	buffer_store_dword v24, off, s[0:3], s32 offset:408 ; 4-byte Folded Spill
	s_waitcnt vmcnt(1)
	buffer_store_dword v25, off, s[0:3], s32 offset:412 ; 4-byte Folded Spill
	buffer_store_dword v47, off, s[0:3], s32 offset:436 ; 4-byte Folded Spill
	;; [unrolled: 1-line block ×3, first 2 shown]
	v_add_u32_e32 v5, v9, v6
	ds_read_b64 v[2:3], v61
	v_and_b32_e32 v5, 0xffffffc0, v5
	v_sub_u32_e32 v5, v9, v5
	v_lshlrev_b32_e32 v4, 11, v4
	v_add3_u32 v4, v5, v4, v8
	v_ashrrev_i32_e32 v5, 31, v4
	v_add_co_u32_e32 v12, vcc, 0x7c0, v4
	v_cmp_lt_u32_e64 s[26:27], 1, v46
	v_addc_co_u32_e32 v13, vcc, 0, v5, vcc
	s_mov_b64 s[76:77], 0
	buffer_store_dword v6, off, s[0:3], s32 offset:440 ; 4-byte Folded Spill
	s_branch .LBB19_180
.LBB19_179:                             ;   in Loop: Header=BB19_180 Depth=3
	s_or_b64 exec, exec, s[78:79]
	v_sub_u32_e32 v10, v10, v36
	v_cmp_gt_i32_e32 vcc, 1, v10
	s_or_b64 s[76:77], vcc, s[76:77]
	v_ashrrev_i32_e32 v4, 31, v51
	v_add_co_u32_e32 v12, vcc, v12, v51
	v_addc_co_u32_e32 v13, vcc, v13, v4, vcc
	s_andn2_b64 exec, exec, s[76:77]
	s_cbranch_execz .LBB19_182
.LBB19_180:                             ;   Parent Loop BB19_4 Depth=1
                                        ;     Parent Loop BB19_53 Depth=2
                                        ; =>    This Inner Loop Header: Depth=3
	v_add_co_u32_e32 v6, vcc, v0, v12
	v_addc_co_u32_e32 v7, vcc, v1, v13, vcc
	s_waitcnt lgkmcnt(0)
	v_add_co_u32_e32 v4, vcc, v2, v12
	v_addc_co_u32_e32 v5, vcc, v3, v13, vcc
	v_add_co_u32_e32 v14, vcc, 0xfffff840, v6
	v_addc_co_u32_e32 v15, vcc, -1, v7, vcc
	flat_load_ubyte v14, v[14:15] glc slc
	v_add_co_u32_e32 v15, vcc, 0xfffff880, v6
	v_addc_co_u32_e32 v16, vcc, -1, v7, vcc
	flat_load_ubyte v15, v[15:16] glc slc
	;; [unrolled: 3-line block ×31, first 2 shown]
	s_nop 0
	flat_load_ubyte v6, v[6:7] glc slc
	v_add_co_u32_e32 v58, vcc, s39, v4
	v_addc_co_u32_e32 v59, vcc, -1, v5, vcc
	s_waitcnt vmcnt(0) lgkmcnt(0)
	flat_store_byte v[58:59], v14 glc slc
	v_add_co_u32_e32 v58, vcc, s48, v4
	v_addc_co_u32_e32 v59, vcc, -1, v5, vcc
	flat_store_byte v[58:59], v15 glc slc
	v_add_co_u32_e32 v58, vcc, s49, v4
	v_addc_co_u32_e32 v59, vcc, -1, v5, vcc
	;; [unrolled: 3-line block ×30, first 2 shown]
	flat_store_byte v[58:59], v53 glc slc
	flat_store_byte v[4:5], v6 glc slc
	s_and_saveexec_b64 s[78:79], s[26:27]
	s_cbranch_execz .LBB19_179
; %bb.181:                              ;   in Loop: Header=BB19_180 Depth=3
	ds_read_b64 v[4:5], v61 offset:8
	s_waitcnt lgkmcnt(0)
	v_add_co_u32_e32 v4, vcc, v12, v4
	v_addc_co_u32_e32 v5, vcc, v13, v5, vcc
	v_add_co_u32_e32 v58, vcc, 0xfffff840, v4
	v_addc_co_u32_e32 v59, vcc, -1, v5, vcc
	flat_store_byte v[58:59], v14 glc slc
	v_add_co_u32_e32 v58, vcc, 0xfffff880, v4
	v_addc_co_u32_e32 v59, vcc, -1, v5, vcc
	v_add_co_u32_e32 v14, vcc, 0xfffff8c0, v4
	flat_store_byte v[58:59], v15 glc slc
	v_addc_co_u32_e32 v15, vcc, -1, v5, vcc
	flat_store_byte v[14:15], v16 glc slc
	v_add_co_u32_e32 v14, vcc, 0xfffff900, v4
	v_addc_co_u32_e32 v15, vcc, -1, v5, vcc
	flat_store_byte v[14:15], v17 glc slc
	v_add_co_u32_e32 v14, vcc, 0xfffff940, v4
	v_addc_co_u32_e32 v15, vcc, -1, v5, vcc
	flat_store_byte v[14:15], v18 glc slc
	v_add_co_u32_e32 v14, vcc, 0xfffff980, v4
	v_addc_co_u32_e32 v15, vcc, -1, v5, vcc
	flat_store_byte v[14:15], v19 glc slc
	v_add_co_u32_e32 v14, vcc, 0xfffff9c0, v4
	v_addc_co_u32_e32 v15, vcc, -1, v5, vcc
	flat_store_byte v[14:15], v20 glc slc
	v_add_co_u32_e32 v14, vcc, 0xfffffa00, v4
	v_addc_co_u32_e32 v15, vcc, -1, v5, vcc
	flat_store_byte v[14:15], v21 glc slc
	v_add_co_u32_e32 v14, vcc, 0xfffffa40, v4
	v_addc_co_u32_e32 v15, vcc, -1, v5, vcc
	flat_store_byte v[14:15], v22 glc slc
	v_add_co_u32_e32 v14, vcc, 0xfffffa80, v4
	v_addc_co_u32_e32 v15, vcc, -1, v5, vcc
	flat_store_byte v[14:15], v23 glc slc
	v_add_co_u32_e32 v14, vcc, 0xfffffac0, v4
	v_addc_co_u32_e32 v15, vcc, -1, v5, vcc
	flat_store_byte v[14:15], v24 glc slc
	v_add_co_u32_e32 v14, vcc, 0xfffffb00, v4
	v_addc_co_u32_e32 v15, vcc, -1, v5, vcc
	flat_store_byte v[14:15], v25 glc slc
	v_add_co_u32_e32 v14, vcc, 0xfffffb40, v4
	v_addc_co_u32_e32 v15, vcc, -1, v5, vcc
	flat_store_byte v[14:15], v26 glc slc
	v_add_co_u32_e32 v14, vcc, 0xfffffb80, v4
	v_addc_co_u32_e32 v15, vcc, -1, v5, vcc
	flat_store_byte v[14:15], v27 glc slc
	v_add_co_u32_e32 v14, vcc, 0xfffffbc0, v4
	v_addc_co_u32_e32 v15, vcc, -1, v5, vcc
	flat_store_byte v[14:15], v28 glc slc
	v_add_co_u32_e32 v14, vcc, 0xfffffc00, v4
	v_addc_co_u32_e32 v15, vcc, -1, v5, vcc
	flat_store_byte v[14:15], v29 glc slc
	v_add_co_u32_e32 v14, vcc, 0xfffffc40, v4
	v_addc_co_u32_e32 v15, vcc, -1, v5, vcc
	flat_store_byte v[14:15], v30 glc slc
	v_add_co_u32_e32 v14, vcc, 0xfffffc80, v4
	v_addc_co_u32_e32 v15, vcc, -1, v5, vcc
	flat_store_byte v[14:15], v31 glc slc
	v_add_co_u32_e32 v14, vcc, 0xfffffcc0, v4
	v_addc_co_u32_e32 v15, vcc, -1, v5, vcc
	flat_store_byte v[14:15], v32 glc slc
	v_add_co_u32_e32 v14, vcc, 0xfffffd00, v4
	v_addc_co_u32_e32 v15, vcc, -1, v5, vcc
	flat_store_byte v[14:15], v33 glc slc
	v_add_co_u32_e32 v14, vcc, 0xfffffd40, v4
	v_addc_co_u32_e32 v15, vcc, -1, v5, vcc
	flat_store_byte v[14:15], v40 glc slc
	v_add_co_u32_e32 v14, vcc, 0xfffffd80, v4
	v_addc_co_u32_e32 v15, vcc, -1, v5, vcc
	flat_store_byte v[14:15], v41 glc slc
	v_add_co_u32_e32 v14, vcc, 0xfffffdc0, v4
	v_addc_co_u32_e32 v15, vcc, -1, v5, vcc
	flat_store_byte v[14:15], v42 glc slc
	v_add_co_u32_e32 v14, vcc, 0xfffffe00, v4
	v_addc_co_u32_e32 v15, vcc, -1, v5, vcc
	flat_store_byte v[14:15], v43 glc slc
	v_add_co_u32_e32 v14, vcc, 0xfffffe40, v4
	v_addc_co_u32_e32 v15, vcc, -1, v5, vcc
	flat_store_byte v[14:15], v35 glc slc
	v_add_co_u32_e32 v14, vcc, 0xfffffe80, v4
	v_addc_co_u32_e32 v15, vcc, -1, v5, vcc
	flat_store_byte v[14:15], v44 glc slc
	v_add_co_u32_e32 v14, vcc, 0xfffffec0, v4
	v_addc_co_u32_e32 v15, vcc, -1, v5, vcc
	flat_store_byte v[14:15], v47 glc slc
	v_add_co_u32_e32 v14, vcc, 0xffffff00, v4
	v_addc_co_u32_e32 v15, vcc, -1, v5, vcc
	flat_store_byte v[14:15], v11 glc slc
	v_add_co_u32_e32 v14, vcc, 0xffffff40, v4
	v_addc_co_u32_e32 v15, vcc, -1, v5, vcc
	flat_store_byte v[14:15], v57 glc slc
	v_add_co_u32_e32 v14, vcc, 0xffffff80, v4
	v_addc_co_u32_e32 v15, vcc, -1, v5, vcc
	flat_store_byte v[14:15], v52 glc slc
	v_add_co_u32_e32 v14, vcc, 0xffffffc0, v4
	v_addc_co_u32_e32 v15, vcc, -1, v5, vcc
	flat_store_byte v[14:15], v53 glc slc
	flat_store_byte v[4:5], v6 glc slc
	s_branch .LBB19_179
.LBB19_182:                             ;   in Loop: Header=BB19_53 Depth=2
	s_or_b64 exec, exec, s[76:77]
	buffer_load_dword v23, off, s[0:3], s32 offset:416 ; 4-byte Folded Reload
	buffer_load_dword v24, off, s[0:3], s32 offset:420 ; 4-byte Folded Reload
	;; [unrolled: 1-line block ×10, first 2 shown]
	v_mov_b32_e32 v33, 2
	v_mov_b32_e32 v52, -1
	v_lshlrev_b32_e32 v58, 6, v36
	v_add_u32_e32 v16, 0x318, v0
	v_add_u32_e32 v17, 0x310, v0
	v_lshlrev_b32_e32 v20, 10, v36
.LBB19_183:                             ;   in Loop: Header=BB19_53 Depth=2
	s_or_b64 exec, exec, s[74:75]
	v_and_b32_e32 v5, 0xfffff800, v37
	v_cmp_ne_u32_e32 vcc, v37, v5
	s_and_b64 exec, exec, vcc
	s_cbranch_execz .LBB19_189
; %bb.184:                              ;   in Loop: Header=BB19_53 Depth=2
	s_waitcnt vmcnt(0)
	v_add_u32_e32 v0, v9, v6
	v_and_b32_e32 v0, 0xffffffc0, v0
	v_sub_u32_e32 v0, v9, v0
	v_lshlrev_b32_e32 v1, 6, v10
	v_sub_u32_e32 v6, v0, v1
	v_and_b32_e32 v0, 0x7ff, v37
	v_sub_u32_e32 v4, v0, v6
	v_cmp_lt_i32_e32 vcc, 0, v4
	s_and_b64 exec, exec, vcc
	s_cbranch_execz .LBB19_189
; %bb.185:                              ;   in Loop: Header=BB19_53 Depth=2
	v_mov_b32_e32 v0, 0x310
	v_mov_b32_e32 v1, 0x318
	v_cndmask_b32_e64 v0, v0, v1, s[24:25]
	v_add_u32_e32 v0, v0, v0
	ds_read_b64 v[0:1], v0
	v_add3_u32 v5, v5, v8, v6
	v_ashrrev_i32_e32 v6, 31, v5
	v_cmp_lt_u32_e32 vcc, 1, v46
	s_mov_b64 s[26:27], 0
	s_waitcnt lgkmcnt(0)
	ds_read_b64 v[2:3], v0 offset:720
	s_branch .LBB19_187
.LBB19_186:                             ;   in Loop: Header=BB19_187 Depth=3
	s_or_b64 exec, exec, s[74:75]
	v_sub_u32_e32 v4, v4, v58
	v_cmp_gt_i32_e64 s[24:25], 1, v4
	s_or_b64 s[26:27], s[24:25], s[26:27]
	v_ashrrev_i32_e32 v7, 31, v58
	v_add_co_u32_e64 v5, s[24:25], v5, v58
	v_addc_co_u32_e64 v6, s[24:25], v6, v7, s[24:25]
	s_andn2_b64 exec, exec, s[26:27]
	s_cbranch_execz .LBB19_189
.LBB19_187:                             ;   Parent Loop BB19_4 Depth=1
                                        ;     Parent Loop BB19_53 Depth=2
                                        ; =>    This Inner Loop Header: Depth=3
	s_waitcnt lgkmcnt(0)
	v_add_co_u32_e64 v7, s[24:25], v2, v5
	v_addc_co_u32_e64 v8, s[24:25], v3, v6, s[24:25]
	flat_load_ubyte v7, v[7:8] glc slc
	v_add_co_u32_e64 v8, s[24:25], v0, v5
	v_addc_co_u32_e64 v9, s[24:25], v1, v6, s[24:25]
	s_waitcnt vmcnt(0) lgkmcnt(0)
	flat_store_byte v[8:9], v7 glc slc
	s_and_saveexec_b64 s[74:75], vcc
	s_cbranch_execz .LBB19_186
; %bb.188:                              ;   in Loop: Header=BB19_187 Depth=3
	ds_read_b64 v[8:9], v61 offset:8
	s_waitcnt lgkmcnt(0)
	v_add_co_u32_e64 v8, s[24:25], v5, v8
	v_addc_co_u32_e64 v9, s[24:25], v6, v9, s[24:25]
	flat_store_byte v[8:9], v7 glc slc
	s_branch .LBB19_186
.LBB19_189:                             ;   in Loop: Header=BB19_53 Depth=2
	s_or_b64 exec, exec, s[28:29]
	s_waitcnt vmcnt(0)
	v_cmp_ne_u32_e32 vcc, 0, v25
	v_and_b32_e32 v0, 16, v62
	s_and_b64 s[24:25], vcc, s[72:73]
	v_cmp_ne_u32_e32 vcc, 0, v0
	s_and_b64 s[24:25], s[24:25], vcc
	s_and_saveexec_b64 s[26:27], s[24:25]
	s_cbranch_execz .LBB19_193
; %bb.190:                              ;   in Loop: Header=BB19_53 Depth=2
	ds_read_b64 v[0:1], v45 offset:16
	s_waitcnt lgkmcnt(0)
	v_cmp_ne_u64_e32 vcc, 0, v[0:1]
	s_and_saveexec_b64 s[28:29], vcc
	s_cbranch_execz .LBB19_192
; %bb.191:                              ;   in Loop: Header=BB19_53 Depth=2
	ds_read_b32 v2, v0 offset:12
	v_and_b32_e32 v3, 7, v38
	v_mad_u64_u32 v[0:1], s[72:73], v3, 24, v[0:1]
	s_waitcnt lgkmcnt(0)
	v_add_u32_e32 v2, v2, v47
	v_ashrrev_i32_e32 v3, 31, v2
	flat_store_dwordx2 v[0:1], v[2:3] offset:8
.LBB19_192:                             ;   in Loop: Header=BB19_53 Depth=2
	s_or_b64 exec, exec, s[28:29]
	ds_read_b64 v[0:1], v45 offset:8
	v_add_co_u32_e32 v38, vcc, 1, v38
	v_addc_co_u32_e32 v39, vcc, 0, v39, vcc
	ds_write_b64 v45, v[38:39]
	s_waitcnt lgkmcnt(0)
	flat_store_dwordx2 v[0:1], v[38:39] offset:104 glc slc
.LBB19_193:                             ;   in Loop: Header=BB19_53 Depth=2
	s_or_b64 exec, exec, s[26:27]
	v_cmp_ne_u32_e32 vcc, 0, v24
	v_and_b32_e32 v0, 32, v62
	s_and_b64 s[26:27], s[62:63], vcc
	v_cmp_ne_u32_e32 vcc, 0, v0
	s_and_b64 s[26:27], s[26:27], vcc
	s_and_saveexec_b64 s[28:29], s[26:27]
	s_cbranch_execz .LBB19_195
; %bb.194:                              ;   in Loop: Header=BB19_53 Depth=2
	ds_read_b64 v[0:1], v45 offset:8
	v_add_co_u32_e32 v38, vcc, 1, v38
	v_addc_co_u32_e32 v39, vcc, 0, v39, vcc
	ds_write_b64 v45, v[38:39]
	s_waitcnt lgkmcnt(0)
	flat_store_dwordx2 v[0:1], v[38:39] offset:104 glc slc
.LBB19_195:                             ;   in Loop: Header=BB19_53 Depth=2
	s_or_b64 exec, exec, s[28:29]
	ds_read_b32 v0, v0
	s_waitcnt lgkmcnt(0)
	v_cmp_lt_i32_e32 vcc, -1, v0
	s_and_saveexec_b64 s[28:29], vcc
	s_xor_b64 s[28:29], exec, s[28:29]
	s_cbranch_execnz .LBB19_204
; %bb.196:                              ;   in Loop: Header=BB19_53 Depth=2
	s_andn2_saveexec_b64 s[28:29], s[28:29]
	s_cbranch_execnz .LBB19_207
.LBB19_197:                             ;   in Loop: Header=BB19_53 Depth=2
	s_or_b64 exec, exec, s[28:29]
	s_and_saveexec_b64 s[22:23], s[16:17]
	s_xor_b64 s[22:23], exec, s[22:23]
	s_cbranch_execnz .LBB19_213
.LBB19_198:                             ;   in Loop: Header=BB19_53 Depth=2
	s_andn2_saveexec_b64 s[22:23], s[22:23]
	s_cbranch_execnz .LBB19_227
.LBB19_199:                             ;   in Loop: Header=BB19_53 Depth=2
	s_or_b64 exec, exec, s[22:23]
	s_and_saveexec_b64 s[22:23], s[24:25]
	s_cbranch_execnz .LBB19_228
.LBB19_200:                             ;   in Loop: Header=BB19_53 Depth=2
	s_or_b64 exec, exec, s[22:23]
	s_and_saveexec_b64 s[22:23], s[26:27]
	s_cbranch_execz .LBB19_202
.LBB19_201:                             ;   in Loop: Header=BB19_53 Depth=2
	ds_read_b64 v[0:1], v45 offset:32
	s_waitcnt lgkmcnt(0)
	flat_store_dwordx2 v[0:1], v[38:39] glc slc
.LBB19_202:                             ;   in Loop: Header=BB19_53 Depth=2
	s_or_b64 exec, exec, s[22:23]
	s_or_b64 exec, exec, s[60:61]
	s_and_saveexec_b64 s[22:23], s[20:21]
	s_cbranch_execz .LBB19_52
.LBB19_203:                             ;   in Loop: Header=BB19_53 Depth=2
	s_waitcnt lgkmcnt(0)
	ds_write_b32 v0, v34 offset:36
	s_branch .LBB19_52
.LBB19_204:                             ;   in Loop: Header=BB19_53 Depth=2
	v_and_b32_e32 v0, 4, v62
	v_cmp_ne_u32_e32 vcc, 0, v0
	s_and_saveexec_b64 s[62:63], vcc
	s_cbranch_execz .LBB19_206
; %bb.205:                              ;   in Loop: Header=BB19_53 Depth=2
	ds_read2_b32 v[0:1], v0 offset0:2 offset1:4
	ds_read_b32 v4, v45 offset:64
	s_waitcnt lgkmcnt(0)
	v_add_u32_e32 v2, v0, v47
	v_ashrrev_i32_e32 v0, 31, v1
	v_add_co_u32_e32 v1, vcc, v38, v1
	v_ashrrev_i32_e32 v3, 31, v2
	v_addc_co_u32_e32 v5, vcc, v39, v0, vcc
	v_ashrrev_i32_e32 v0, 31, v4
	v_mul_lo_u32 v6, v1, v0
	v_mad_u64_u32 v[0:1], s[72:73], v1, v4, v[2:3]
	v_mul_lo_u32 v2, v5, v4
	v_add3_u32 v1, v2, v1, v6
	ds_max_i64 v45, v[0:1] offset:56
.LBB19_206:                             ;   in Loop: Header=BB19_53 Depth=2
	s_or_b64 exec, exec, s[62:63]
                                        ; implicit-def: $vgpr54_vgpr55
	s_andn2_saveexec_b64 s[28:29], s[28:29]
	s_cbranch_execz .LBB19_197
.LBB19_207:                             ;   in Loop: Header=BB19_53 Depth=2
	s_and_saveexec_b64 s[62:63], s[22:23]
	s_cbranch_execz .LBB19_212
; %bb.208:                              ;   in Loop: Header=BB19_53 Depth=2
	s_mov_b64 s[72:73], exec
	s_mov_b64 s[22:23], s[40:41]
.LBB19_209:                             ;   Parent Loop BB19_4 Depth=1
                                        ;     Parent Loop BB19_53 Depth=2
                                        ; =>    This Inner Loop Header: Depth=3
	s_ff1_i32_b64 s76, s[72:73]
	v_readlane_b32 s77, v55, s76
	v_readlane_b32 s78, v54, s76
	v_mov_b32_e32 v0, s78
	v_mov_b32_e32 v1, s77
	v_cmp_gt_i64_e32 vcc, s[22:23], v[0:1]
	s_and_b64 s[74:75], vcc, exec
	s_cselect_b32 s23, s23, s77
	s_cselect_b32 s22, s22, s78
	s_lshl_b64 s[74:75], 1, s76
	s_andn2_b64 s[72:73], s[72:73], s[74:75]
	s_cmp_lg_u64 s[72:73], 0
	s_cbranch_scc1 .LBB19_209
; %bb.210:                              ;   in Loop: Header=BB19_53 Depth=2
	v_mbcnt_lo_u32_b32 v0, exec_lo, 0
	v_mbcnt_hi_u32_b32 v0, exec_hi, v0
	v_cmp_eq_u32_e32 vcc, 0, v0
	s_and_saveexec_b64 s[72:73], vcc
	s_xor_b64 s[72:73], exec, s[72:73]
	s_cbranch_execz .LBB19_212
; %bb.211:                              ;   in Loop: Header=BB19_53 Depth=2
	v_mov_b32_e32 v0, s22
	v_mov_b32_e32 v1, s23
	ds_max_i64 v0, v[0:1]
	s_trap 2
.LBB19_212:                             ;   in Loop: Header=BB19_53 Depth=2
	s_or_b64 exec, exec, s[62:63]
	s_or_b64 exec, exec, s[28:29]
	s_and_saveexec_b64 s[22:23], s[16:17]
	s_xor_b64 s[22:23], exec, s[22:23]
	s_cbranch_execz .LBB19_198
.LBB19_213:                             ;   in Loop: Header=BB19_53 Depth=2
	s_and_saveexec_b64 s[28:29], s[56:57]
	s_cbranch_execz .LBB19_226
; %bb.214:                              ;   in Loop: Header=BB19_53 Depth=2
	s_mov_b64 s[72:73], exec
	v_mbcnt_lo_u32_b32 v0, s72, 0
	v_mbcnt_hi_u32_b32 v0, s73, v0
	v_cmp_eq_u32_e32 vcc, 0, v0
	s_waitcnt vmcnt(0) lgkmcnt(0)
	buffer_wbinvl1_vol
	s_and_saveexec_b64 s[62:63], vcc
	s_cbranch_execz .LBB19_216
; %bb.215:                              ;   in Loop: Header=BB19_53 Depth=2
	s_bcnt1_i32_b64 s72, s[72:73]
	v_mov_b32_e32 v0, s72
	v_mov_b32_e32 v1, v34
	ds_add_u64 v0, v[0:1]
	s_trap 2
.LBB19_216:                             ;   in Loop: Header=BB19_53 Depth=2
	s_or_b64 exec, exec, s[62:63]
	s_trap 2
	ds_read_b64 v[0:1], v0
	s_waitcnt lgkmcnt(0)
	v_add_co_u32_e32 v48, vcc, 2, v48
	v_addc_co_u32_e32 v49, vcc, 0, v49, vcc
	v_cmp_lt_u64_e32 vcc, v[0:1], v[48:49]
	s_and_saveexec_b64 s[62:63], vcc
	s_cbranch_execz .LBB19_225
; %bb.217:                              ;   in Loop: Header=BB19_53 Depth=2
	s_mov_b32 s92, 0
	s_mov_b64 s[72:73], 0
                                        ; implicit-def: $sgpr74_sgpr75
                                        ; implicit-def: $sgpr76_sgpr77
	s_branch .LBB19_219
.LBB19_218:                             ;   in Loop: Header=BB19_219 Depth=3
	s_or_b64 exec, exec, s[88:89]
	s_and_b64 s[78:79], exec, s[90:91]
	s_or_b64 s[72:73], s[78:79], s[72:73]
	s_andn2_b64 s[74:75], s[74:75], exec
	s_and_b64 s[78:79], s[76:77], exec
	s_or_b64 s[74:75], s[74:75], s[78:79]
	s_andn2_b64 exec, exec, s[72:73]
	s_cbranch_execz .LBB19_223
.LBB19_219:                             ;   Parent Loop BB19_4 Depth=1
                                        ;     Parent Loop BB19_53 Depth=2
                                        ; =>    This Inner Loop Header: Depth=3
	s_add_i32 s92, s92, 1
	s_cmpk_lg_i32 s92, 0x2710
	s_cselect_b64 s[78:79], -1, 0
	s_and_b64 vcc, exec, s[78:79]
	s_cbranch_vccz .LBB19_221
; %bb.220:                              ;   in Loop: Header=BB19_219 Depth=3
	s_mov_b64 s[90:91], -1
	s_or_b64 s[76:77], s[76:77], exec
	s_and_saveexec_b64 s[88:89], s[78:79]
	s_cbranch_execz .LBB19_218
	s_branch .LBB19_222
.LBB19_221:                             ;   in Loop: Header=BB19_219 Depth=3
	s_trap 2
	ds_read_b64 v[0:1], v0
	s_andn2_b64 s[78:79], s[78:79], exec
	s_mov_b32 s92, 0
	s_waitcnt lgkmcnt(0)
	flat_load_dword v0, v[0:1] glc
	s_waitcnt vmcnt(0) lgkmcnt(0)
	buffer_wbinvl1_vol
	v_cmp_eq_u32_e32 vcc, 0, v0
	s_and_b64 s[88:89], vcc, exec
	s_or_b64 s[78:79], s[78:79], s[88:89]
	s_mov_b64 s[90:91], -1
	s_or_b64 s[76:77], s[76:77], exec
	s_and_saveexec_b64 s[88:89], s[78:79]
	s_cbranch_execz .LBB19_218
.LBB19_222:                             ;   in Loop: Header=BB19_219 Depth=3
	s_sleep 1
	s_trap 2
	ds_read_b64 v[0:1], v0
	s_waitcnt lgkmcnt(0)
	s_andn2_b64 s[76:77], s[76:77], exec
	v_cmp_ge_u64_e32 vcc, v[0:1], v[48:49]
	s_orn2_b64 s[90:91], vcc, exec
	s_branch .LBB19_218
.LBB19_223:                             ;   in Loop: Header=BB19_53 Depth=2
	s_or_b64 exec, exec, s[72:73]
	s_and_saveexec_b64 s[72:73], s[74:75]
	s_xor_b64 s[72:73], exec, s[72:73]
	s_cbranch_execz .LBB19_225
; %bb.224:                              ;   in Loop: Header=BB19_53 Depth=2
	ds_write_b32 v0, v56
	s_trap 2
.LBB19_225:                             ;   in Loop: Header=BB19_53 Depth=2
	s_or_b64 exec, exec, s[62:63]
	;;#ASMSTART
	s_wakeup
	;;#ASMEND
.LBB19_226:                             ;   in Loop: Header=BB19_53 Depth=2
	s_or_b64 exec, exec, s[28:29]
	s_andn2_saveexec_b64 s[22:23], s[22:23]
	s_cbranch_execz .LBB19_199
.LBB19_227:                             ;   in Loop: Header=BB19_53 Depth=2
	s_waitcnt vmcnt(0) lgkmcnt(0)
	buffer_wbinvl1_vol
	s_barrier
	s_or_b64 exec, exec, s[22:23]
	s_and_saveexec_b64 s[22:23], s[24:25]
	s_cbranch_execz .LBB19_200
.LBB19_228:                             ;   in Loop: Header=BB19_53 Depth=2
	ds_read_b64 v[0:1], v45 offset:40
	s_waitcnt lgkmcnt(0)
	flat_store_dwordx2 v[0:1], v[38:39] glc slc
	s_or_b64 exec, exec, s[22:23]
	s_and_saveexec_b64 s[22:23], s[26:27]
	s_cbranch_execnz .LBB19_201
	s_branch .LBB19_202
.LBB19_229:                             ;   in Loop: Header=BB19_4 Depth=1
	s_or_b64 exec, exec, s[58:59]
	buffer_load_dword v32, off, s[0:3], s32 offset:456 ; 4-byte Folded Reload
	v_and_b32_e32 v0, 0x800, v62
	v_cmp_eq_u32_e32 vcc, 0, v0
	s_and_b64 s[18:19], exec, vcc
	s_mov_b64 exec, s[18:19]
	s_cbranch_execz .LBB19_258
; %bb.230:                              ;   in Loop: Header=BB19_4 Depth=1
	v_and_b32_e32 v0, 48, v62
	v_cmp_ne_u32_e32 vcc, 0, v0
	s_and_saveexec_b64 s[18:19], vcc
	s_cbranch_execz .LBB19_232
; %bb.231:                              ;   in Loop: Header=BB19_4 Depth=1
	v_mov_b32_e32 v0, 0x68
	v_mov_b32_e32 v1, 0
	flat_store_dwordx2 v[0:1], v[38:39]
.LBB19_232:                             ;   in Loop: Header=BB19_4 Depth=1
	s_or_b64 exec, exec, s[18:19]
	v_and_b32_e32 v0, 0x88, v62
	s_movk_i32 s18, 0x88
	v_cmp_eq_u32_e32 vcc, s18, v0
	s_and_saveexec_b64 s[20:21], vcc
	s_cbranch_execz .LBB19_242
; %bb.233:                              ;   in Loop: Header=BB19_4 Depth=1
	v_add_u32_e32 v0, -1, v38
	v_and_b32_e32 v0, 7, v0
	v_mul_hi_u32_u24_e32 v1, 24, v0
	v_mul_u32_u24_e32 v0, 24, v0
	flat_load_dwordx2 v[2:3], v[0:1] offset:8 glc
	s_waitcnt vmcnt(0) lgkmcnt(0)
	v_cmp_ne_u64_e32 vcc, -1, v[2:3]
	v_and_b32_e32 v2, 64, v62
	v_cmp_eq_u32_e64 s[18:19], 0, v2
	s_and_b64 s[18:19], s[18:19], vcc
	s_and_b64 exec, exec, s[18:19]
	s_cbranch_execz .LBB19_242
; %bb.234:                              ;   in Loop: Header=BB19_4 Depth=1
	s_mov_b32 s60, 0
	s_mov_b64 s[18:19], 0
                                        ; implicit-def: $sgpr22_sgpr23
                                        ; implicit-def: $sgpr24_sgpr25
	s_branch .LBB19_236
.LBB19_235:                             ;   in Loop: Header=BB19_236 Depth=2
	s_or_b64 exec, exec, s[58:59]
	s_and_b64 s[26:27], exec, s[28:29]
	s_or_b64 s[18:19], s[26:27], s[18:19]
	s_andn2_b64 s[22:23], s[22:23], exec
	s_and_b64 s[26:27], s[24:25], exec
	s_or_b64 s[22:23], s[22:23], s[26:27]
	s_andn2_b64 exec, exec, s[18:19]
	s_cbranch_execz .LBB19_240
.LBB19_236:                             ;   Parent Loop BB19_4 Depth=1
                                        ; =>  This Inner Loop Header: Depth=2
	s_cmpk_lt_i32 s60, 0x270f
	s_cselect_b64 s[26:27], -1, 0
	s_and_b64 vcc, exec, s[26:27]
	s_cbranch_vccnz .LBB19_238
; %bb.237:                              ;   in Loop: Header=BB19_236 Depth=2
	s_trap 2
	ds_read_b64 v[2:3], v0
	s_andn2_b64 s[26:27], s[26:27], exec
	s_mov_b32 s60, 0
	s_waitcnt lgkmcnt(0)
	flat_load_dword v2, v[2:3] glc
	s_waitcnt vmcnt(0) lgkmcnt(0)
	buffer_wbinvl1_vol
	v_cmp_eq_u32_e32 vcc, 0, v2
	s_and_b64 s[28:29], vcc, exec
	s_or_b64 s[26:27], s[26:27], s[28:29]
	s_mov_b64 s[28:29], -1
	s_or_b64 s[24:25], s[24:25], exec
	s_and_saveexec_b64 s[58:59], s[26:27]
	s_cbranch_execz .LBB19_235
	s_branch .LBB19_239
.LBB19_238:                             ;   in Loop: Header=BB19_236 Depth=2
	s_add_i32 s60, s60, 1
                                        ; implicit-def: $vgpr2
	s_mov_b64 s[28:29], -1
	s_or_b64 s[24:25], s[24:25], exec
	s_and_saveexec_b64 s[58:59], s[26:27]
	s_cbranch_execz .LBB19_235
.LBB19_239:                             ;   in Loop: Header=BB19_236 Depth=2
	flat_load_dwordx2 v[3:4], v[0:1] offset:8 glc
	s_waitcnt vmcnt(0)
	s_andn2_b64 s[24:25], s[24:25], exec
	s_waitcnt lgkmcnt(0)
	v_cmp_eq_u64_e32 vcc, -1, v[3:4]
	s_orn2_b64 s[28:29], vcc, exec
	s_branch .LBB19_235
.LBB19_240:                             ;   in Loop: Header=BB19_4 Depth=1
	s_or_b64 exec, exec, s[18:19]
	s_and_saveexec_b64 s[18:19], s[22:23]
	s_xor_b64 s[18:19], exec, s[18:19]
	s_cbranch_execz .LBB19_242
; %bb.241:                              ;   in Loop: Header=BB19_4 Depth=1
	ds_write_b32 v0, v2
	s_trap 2
.LBB19_242:                             ;   in Loop: Header=BB19_4 Depth=1
	s_or_b64 exec, exec, s[20:21]
	v_cmp_ne_u32_e32 vcc, 1, v36
	s_and_b64 exec, exec, vcc
	s_cbranch_execz .LBB19_258
; %bb.243:                              ;   in Loop: Header=BB19_4 Depth=1
	s_and_saveexec_b64 s[18:19], s[16:17]
	s_xor_b64 s[16:17], exec, s[18:19]
	s_cbranch_execz .LBB19_256
; %bb.244:                              ;   in Loop: Header=BB19_4 Depth=1
	s_and_saveexec_b64 s[18:19], s[56:57]
	s_cbranch_execz .LBB19_255
; %bb.245:                              ;   in Loop: Header=BB19_4 Depth=1
	v_mov_b32_e32 v0, 1
	v_mov_b32_e32 v1, 0
	s_waitcnt vmcnt(0) lgkmcnt(0)
	buffer_wbinvl1_vol
	ds_add_u64 v0, v[0:1] offset:856
	ds_read_b64 v[0:1], v0 offset:856
	s_waitcnt lgkmcnt(0)
	v_ashrrev_i32_e32 v37, 31, v36
	v_cmp_lt_u64_e32 vcc, v[0:1], v[36:37]
	s_and_saveexec_b64 s[20:21], vcc
	s_cbranch_execz .LBB19_254
; %bb.246:                              ;   in Loop: Header=BB19_4 Depth=1
	s_mov_b32 s60, 0
	s_mov_b64 s[22:23], 0
                                        ; implicit-def: $sgpr24_sgpr25
                                        ; implicit-def: $sgpr26_sgpr27
	s_branch .LBB19_248
.LBB19_247:                             ;   in Loop: Header=BB19_248 Depth=2
	s_or_b64 exec, exec, s[58:59]
	s_and_b64 s[28:29], exec, s[56:57]
	s_or_b64 s[22:23], s[28:29], s[22:23]
	s_andn2_b64 s[24:25], s[24:25], exec
	s_and_b64 s[28:29], s[26:27], exec
	s_or_b64 s[24:25], s[24:25], s[28:29]
	s_andn2_b64 exec, exec, s[22:23]
	s_cbranch_execz .LBB19_252
.LBB19_248:                             ;   Parent Loop BB19_4 Depth=1
                                        ; =>  This Inner Loop Header: Depth=2
	s_add_i32 s60, s60, 1
	s_cmpk_lg_i32 s60, 0x2710
	s_cselect_b64 s[28:29], -1, 0
	s_and_b64 vcc, exec, s[28:29]
	s_cbranch_vccz .LBB19_250
; %bb.249:                              ;   in Loop: Header=BB19_248 Depth=2
	s_mov_b64 s[56:57], -1
	s_or_b64 s[26:27], s[26:27], exec
	s_and_saveexec_b64 s[58:59], s[28:29]
	s_cbranch_execz .LBB19_247
	s_branch .LBB19_251
.LBB19_250:                             ;   in Loop: Header=BB19_248 Depth=2
	s_trap 2
	ds_read_b64 v[0:1], v0
	s_andn2_b64 s[28:29], s[28:29], exec
	s_mov_b32 s60, 0
	s_waitcnt lgkmcnt(0)
	flat_load_dword v0, v[0:1] glc
	s_waitcnt vmcnt(0) lgkmcnt(0)
	buffer_wbinvl1_vol
	v_cmp_eq_u32_e32 vcc, 0, v0
	s_and_b64 s[56:57], vcc, exec
	s_or_b64 s[28:29], s[28:29], s[56:57]
	s_mov_b64 s[56:57], -1
	s_or_b64 s[26:27], s[26:27], exec
	s_and_saveexec_b64 s[58:59], s[28:29]
	s_cbranch_execz .LBB19_247
.LBB19_251:                             ;   in Loop: Header=BB19_248 Depth=2
	s_sleep 1
	ds_read_b64 v[0:1], v0 offset:856
	s_waitcnt lgkmcnt(0)
	s_andn2_b64 s[26:27], s[26:27], exec
	v_cmp_ge_u64_e32 vcc, v[0:1], v[36:37]
	s_orn2_b64 s[56:57], vcc, exec
	s_branch .LBB19_247
.LBB19_252:                             ;   in Loop: Header=BB19_4 Depth=1
	s_or_b64 exec, exec, s[22:23]
	s_and_saveexec_b64 s[22:23], s[24:25]
	s_xor_b64 s[22:23], exec, s[22:23]
	s_cbranch_execz .LBB19_254
; %bb.253:                              ;   in Loop: Header=BB19_4 Depth=1
	ds_write_b32 v0, v56
	s_trap 2
.LBB19_254:                             ;   in Loop: Header=BB19_4 Depth=1
	s_or_b64 exec, exec, s[20:21]
	;;#ASMSTART
	s_wakeup
	;;#ASMEND
.LBB19_255:                             ;   in Loop: Header=BB19_4 Depth=1
	s_or_b64 exec, exec, s[18:19]
.LBB19_256:                             ;   in Loop: Header=BB19_4 Depth=1
	s_andn2_saveexec_b64 s[16:17], s[16:17]
	s_cbranch_execz .LBB19_258
; %bb.257:                              ;   in Loop: Header=BB19_4 Depth=1
	s_waitcnt vmcnt(0) lgkmcnt(0)
	buffer_wbinvl1_vol
	s_barrier
.LBB19_258:                             ;   in Loop: Header=BB19_4 Depth=1
	s_or_b64 exec, exec, s[46:47]
                                        ; implicit-def: $vgpr2_vgpr3
                                        ; implicit-def: $vgpr6
                                        ; implicit-def: $vgpr4_vgpr5
                                        ; implicit-def: $vgpr10_vgpr11
                                        ; implicit-def: $vgpr8_vgpr9
.LBB19_259:                             ;   in Loop: Header=BB19_4 Depth=1
	s_andn2_saveexec_b64 s[16:17], s[44:45]
	s_cbranch_execz .LBB19_3
; %bb.260:                              ;   in Loop: Header=BB19_4 Depth=1
	v_add_co_u32_e32 v1, vcc, v6, v4
	v_addc_co_u32_e32 v4, vcc, v7, v5, vcc
	v_add_co_u32_e32 v5, vcc, v8, v2
	v_and_b32_e32 v0, 0x3ffffe00, v10
	v_addc_co_u32_e32 v6, vcc, v9, v3, vcc
	buffer_store_dword v9, off, s[0:3], s32 offset:68
	buffer_store_dword v8, off, s[0:3], s32 offset:64
	;; [unrolled: 1-line block ×7, first 2 shown]
	v_mov_b32_e32 v1, s37
	buffer_store_dword v1, off, s[0:3], s32 offset:96
	v_mov_b32_e32 v1, s99
	buffer_store_dword v1, off, s[0:3], s32 offset:100
	buffer_store_dword v33, off, s[0:3], s32 offset:116
	v_sub_u32_e64 v1, s99, 1 clamp
	v_readfirstlane_b32 s16, v1
	s_flbit_i32_b32 s16, s16
	s_sub_i32 s16, 32, s16
	s_lshl_b32 s16, 1, s16
	s_cmp_gt_u32 s99, 1
	s_cselect_b32 s22, s16, 1
	s_lshr_b32 s16, s99, 31
	v_mov_b32_e32 v1, s22
	s_add_i32 s99, s99, s16
	buffer_store_dword v1, off, s[0:3], s32 offset:104
	buffer_store_dword v1, off, s[0:3], s32 offset:132
	;; [unrolled: 1-line block ×3, first 2 shown]
	v_mov_b32_e32 v1, v34
	s_ashr_i32 s21, s99, 1
	s_mov_b32 s23, 1
	s_branch .LBB19_262
.LBB19_261:                             ;   in Loop: Header=BB19_262 Depth=2
	s_andn2_b64 vcc, exec, s[18:19]
	s_cbranch_vccz .LBB19_266
.LBB19_262:                             ;   Parent Loop BB19_4 Depth=1
                                        ; =>  This Inner Loop Header: Depth=2
	s_mov_b32 s24, s23
	s_ashr_i32 s16, s23, 31
	v_mul_hi_u32 v5, v2, s24
	v_mul_lo_u32 v6, v2, s16
	v_mul_lo_u32 v7, v3, s24
	;; [unrolled: 1-line block ×3, first 2 shown]
	s_mov_b32 s20, s22
	v_add_u32_e32 v5, v5, v6
	v_add_u32_e32 v5, v5, v7
	v_cmp_lt_u64_e32 vcc, v[0:1], v[4:5]
	v_mov_b32_e32 v5, 0
	v_mov_b32_e32 v6, 0
	s_cbranch_vccnz .LBB19_264
; %bb.263:                              ;   in Loop: Header=BB19_262 Depth=2
	v_cvt_f32_u32_e32 v5, v4
	v_sub_u32_e32 v6, 0, v4
	v_rcp_iflag_f32_e32 v5, v5
	v_mul_f32_e32 v5, 0x4f7ffffe, v5
	v_cvt_u32_f32_e32 v5, v5
	v_mul_lo_u32 v6, v6, v5
	v_mul_hi_u32 v6, v5, v6
	v_add_u32_e32 v5, v5, v6
	v_mul_hi_u32 v5, v0, v5
	v_mul_lo_u32 v6, v5, v4
	v_add_u32_e32 v7, 1, v5
	v_sub_u32_e32 v6, v0, v6
	v_sub_u32_e32 v8, v6, v4
	v_cmp_ge_u32_e32 vcc, v6, v4
	v_cndmask_b32_e32 v6, v6, v8, vcc
	v_cndmask_b32_e32 v5, v5, v7, vcc
	v_add_u32_e32 v7, 1, v5
	v_cmp_ge_u32_e32 vcc, v6, v4
	v_cndmask_b32_e32 v5, v5, v7, vcc
	v_mov_b32_e32 v6, v34
.LBB19_264:                             ;   in Loop: Header=BB19_262 Depth=2
	s_cmp_lt_i32 s24, s21
	v_cmp_gt_u64_e32 vcc, 2, v[5:6]
	s_cselect_b64 s[16:17], -1, 0
	s_cmp_ge_i32 s24, s21
	s_cselect_b64 s[22:23], -1, 0
	s_or_b64 s[22:23], s[22:23], vcc
	s_mov_b64 s[18:19], -1
	s_and_b64 vcc, exec, s[22:23]
                                        ; implicit-def: $sgpr23
                                        ; implicit-def: $sgpr22
	s_cbranch_vccnz .LBB19_261
; %bb.265:                              ;   in Loop: Header=BB19_262 Depth=2
	s_lshr_b32 s18, s20, 31
	s_lshl_b32 s23, s24, 1
	s_add_i32 s18, s20, s18
	v_mov_b32_e32 v4, s23
	s_ashr_i32 s22, s18, 1
	buffer_store_dword v4, off, s[0:3], s32 offset:120
	v_mov_b32_e32 v4, s22
	s_mov_b64 s[18:19], 0
	buffer_store_dword v4, off, s[0:3], s32 offset:132
	s_branch .LBB19_261
.LBB19_266:                             ;   in Loop: Header=BB19_4 Depth=1
	v_mov_b32_e32 v4, s24
	s_cmp_gt_i32 s24, 1
	s_mov_b32 s25, 2
	buffer_store_dword v4, off, s[0:3], s32 offset:108
	s_cbranch_scc1 .LBB19_268
; %bb.267:                              ;   in Loop: Header=BB19_4 Depth=1
	v_mov_b32_e32 v4, s24
	s_mov_b32 s25, s24
	buffer_store_dword v4, off, s[0:3], s32 offset:116
.LBB19_268:                             ;   in Loop: Header=BB19_4 Depth=1
	s_andn2_b64 vcc, exec, s[16:17]
	s_cbranch_vccnz .LBB19_273
; %bb.269:                              ;   in Loop: Header=BB19_4 Depth=1
	s_lshr_b32 s17, s20, 31
	s_lshl_b32 s16, s24, 1
	s_add_i32 s17, s20, s17
	v_mov_b32_e32 v4, s16
	s_ashr_i32 s17, s17, 1
	buffer_store_dword v4, off, s[0:3], s32 offset:120
	v_mov_b32_e32 v4, s17
	s_cmp_ge_i32 s16, s21
	buffer_store_dword v4, off, s[0:3], s32 offset:132
	s_cbranch_scc1 .LBB19_272
; %bb.270:                              ;   in Loop: Header=BB19_4 Depth=1
	s_ashr_i32 s18, s20, 31
	s_lshr_b32 s17, s18, 30
	s_lshl_b32 s16, s24, 2
	s_add_i32 s17, s20, s17
	v_mov_b32_e32 v4, s16
	s_ashr_i32 s17, s17, 2
	buffer_store_dword v4, off, s[0:3], s32 offset:120
	v_mov_b32_e32 v4, s17
	s_cmp_ge_i32 s16, s21
	buffer_store_dword v4, off, s[0:3], s32 offset:132
	s_cbranch_scc1 .LBB19_272
; %bb.271:                              ;   in Loop: Header=BB19_4 Depth=1
	s_lshr_b32 s17, s18, 29
	s_lshl_b32 s16, s24, 3
	s_add_i32 s17, s20, s17
	v_mov_b32_e32 v4, s16
	s_ashr_i32 s17, s17, 3
	buffer_store_dword v4, off, s[0:3], s32 offset:120
	v_mov_b32_e32 v4, s17
	buffer_store_dword v4, off, s[0:3], s32 offset:132
.LBB19_272:                             ;   in Loop: Header=BB19_4 Depth=1
	s_mov_b32 s24, s16
	s_mov_b32 s20, s17
.LBB19_273:                             ;   in Loop: Header=BB19_4 Depth=1
	s_cmp_lt_u32 s20, 2
	s_cselect_b64 s[18:19], -1, 0
	s_lshr_b32 s16, s24, 31
	s_add_i32 s16, s24, s16
	s_ashr_i32 s26, s16, 1
	s_add_i32 s16, s24, -2
	v_cmp_lt_i64_e32 vcc, v[0:1], v[2:3]
	s_cmp_lt_u32 s16, -3
	v_sub_u32_e64 v4, s20, 1 clamp
	s_cselect_b64 s[16:17], -1, 0
	v_ffbh_u32_e32 v4, v4
	v_cndmask_b32_e32 v0, v2, v0, vcc
	s_and_b64 s[20:21], s[16:17], exec
	v_sub_u32_e32 v6, 32, v4
	buffer_store_dword v0, off, s[0:3], s32 offset:92
	v_mov_b32_e32 v0, s26
	s_cselect_b32 s20, 2, 1
	v_mov_b32_e32 v5, 0
	v_cndmask_b32_e64 v4, v6, 0, s[18:19]
	buffer_store_dword v0, off, s[0:3], s32 offset:136
	v_mov_b32_e32 v0, s20
	s_and_b64 vcc, exec, s[18:19]
	s_mov_b32 s18, s34
	buffer_store_dword v4, off, s[0:3], s32 offset:144
	buffer_store_dword v0, off, s[0:3], s32 offset:140
	;; [unrolled: 1-line block ×3, first 2 shown]
	s_cbranch_vccnz .LBB19_283
.LBB19_274:                             ;   Parent Loop BB19_4 Depth=1
                                        ; =>  This Inner Loop Header: Depth=2
	v_mov_b32_e32 v0, s18
	buffer_store_dword v6, v0, s[0:3], 0 offen
	v_add_u32_e32 v6, -1, v6
	v_cmp_ne_u32_e32 vcc, 0, v6
	s_add_i32 s18, s18, 4
	buffer_store_dword v56, v0, s[0:3], 0 offen offset:128
	s_cbranch_vccnz .LBB19_274
; %bb.275:                              ;   in Loop: Header=BB19_4 Depth=1
	v_mov_b32_e32 v5, 0
	s_mov_b32 s27, 0
	s_mov_b32 s28, s34
	s_branch .LBB19_279
.LBB19_276:                             ;   in Loop: Header=BB19_279 Depth=2
	s_or_b64 exec, exec, s[22:23]
	v_add_u32_e32 v1, 1, v1
	v_mov_b32_e32 v2, s28
	buffer_store_dword v1, v2, s[0:3], 0 offen offset:128
.LBB19_277:                             ;   in Loop: Header=BB19_279 Depth=2
	s_or_b64 exec, exec, s[20:21]
	v_mov_b32_e32 v5, v0
.LBB19_278:                             ;   in Loop: Header=BB19_279 Depth=2
	s_or_b64 exec, exec, s[18:19]
	s_add_i32 s27, s27, 1
	v_cmp_ne_u32_e32 vcc, s27, v4
	s_add_i32 s28, s28, 4
	s_cbranch_vccz .LBB19_283
.LBB19_279:                             ;   Parent Loop BB19_4 Depth=1
                                        ; =>  This Inner Loop Header: Depth=2
	v_mov_b32_e32 v0, s28
	buffer_load_dword v1, v0, s[0:3], 0 offen
	s_waitcnt vmcnt(0)
	v_add_u32_e32 v1, -1, v1
	v_cmp_eq_u32_e32 vcc, 0, v1
	buffer_store_dword v1, v0, s[0:3], 0 offen
	s_and_saveexec_b64 s[18:19], vcc
	s_cbranch_execz .LBB19_278
; %bb.280:                              ;   in Loop: Header=BB19_279 Depth=2
	s_lshl_b32 s29, 1, s27
	v_xor_b32_e32 v0, s29, v5
	v_mov_b32_e32 v1, s29
	v_mov_b32_e32 v2, s28
	buffer_store_dword v0, off, s[0:3], s32 offset:148
	buffer_store_dword v1, v2, s[0:3], 0 offen
	v_and_b32_e32 v1, s29, v5
	v_cmp_ne_u32_e32 vcc, 0, v1
	s_and_saveexec_b64 s[20:21], vcc
	s_cbranch_execz .LBB19_277
; %bb.281:                              ;   in Loop: Header=BB19_279 Depth=2
	v_mov_b32_e32 v2, s28
	buffer_load_dword v1, v2, s[0:3], 0 offen offset:128
	s_waitcnt vmcnt(0)
	v_ffbl_b32_e32 v3, v1
	v_cmp_eq_u32_e32 vcc, 0, v1
	v_cndmask_b32_e32 v3, v3, v4, vcc
	v_add3_u32 v3, s29, -1, v3
	v_cmp_eq_u32_e32 vcc, 0, v3
	buffer_store_dword v3, v2, s[0:3], 0 offen
	s_and_saveexec_b64 s[22:23], vcc
	s_cbranch_execz .LBB19_276
; %bb.282:                              ;   in Loop: Header=BB19_279 Depth=2
	v_mov_b32_e32 v0, s29
	v_mov_b32_e32 v2, s28
	buffer_store_dword v5, off, s[0:3], s32 offset:148
	buffer_store_dword v0, v2, s[0:3], 0 offen
	v_mov_b32_e32 v0, v5
	s_branch .LBB19_276
.LBB19_283:                             ;   in Loop: Header=BB19_4 Depth=1
	s_andn2_b64 vcc, exec, s[16:17]
	buffer_store_dword v5, off, s[0:3], s32 offset:124
	buffer_store_dword v34, off, s[0:3], s32 offset:128
	s_cbranch_vccnz .LBB19_285
; %bb.284:                              ;   in Loop: Header=BB19_4 Depth=1
	s_lshl_b32 s16, s26, 1
	s_ashr_i32 s17, s26, 31
	s_add_i32 s16, s16, s17
	s_xor_b32 s16, s16, s17
	v_cvt_f32_u32_e32 v0, s16
	s_ashr_i32 s18, s24, 31
	s_xor_b32 s17, s18, s17
	s_sub_i32 s18, 0, s16
	v_rcp_iflag_f32_e32 v0, v0
	s_abs_i32 s19, s24
	v_mul_f32_e32 v0, 0x4f7ffffe, v0
	v_cvt_u32_f32_e32 v0, v0
	v_readfirstlane_b32 s20, v0
	s_mul_i32 s18, s18, s20
	s_mul_hi_u32 s18, s20, s18
	s_add_i32 s20, s20, s18
	s_mul_hi_u32 s18, s19, s20
	s_mul_i32 s20, s18, s16
	s_sub_i32 s19, s19, s20
	s_add_i32 s21, s18, 1
	s_sub_i32 s20, s19, s16
	s_cmp_ge_u32 s19, s16
	s_cselect_b32 s18, s21, s18
	s_cselect_b32 s19, s20, s19
	s_add_i32 s20, s18, 1
	s_cmp_ge_u32 s19, s16
	s_cselect_b32 s16, s20, s18
	s_xor_b32 s16, s16, s17
	s_sub_i32 s24, s16, s17
.LBB19_285:                             ;   in Loop: Header=BB19_4 Depth=1
	v_mov_b32_e32 v0, s24
	buffer_store_dword v0, off, s[0:3], s32 offset:112
	v_mov_b32_e32 v0, s25
	s_mov_b32 s60, 0
	s_mov_b64 s[24:25], 0
	ds_write_b32 v0, v0
	s_trap 2
	s_branch .LBB19_288
.LBB19_286:                             ;   in Loop: Header=BB19_288 Depth=2
	s_or_b64 exec, exec, s[16:17]
	s_andn2_b64 s[26:27], s[26:27], exec
.LBB19_287:                             ;   in Loop: Header=BB19_288 Depth=2
	s_or_b64 exec, exec, s[20:21]
	s_add_i32 s60, s60, 1
	s_and_b64 s[16:17], exec, s[26:27]
	v_cndmask_b32_e64 v0, 1, 3, s[18:19]
	s_or_b64 s[24:25], s[16:17], s[24:25]
	ds_write_b32 v0, v0 offset:36
	s_andn2_b64 exec, exec, s[24:25]
	s_cbranch_execz .LBB19_2
.LBB19_288:                             ;   Parent Loop BB19_4 Depth=1
                                        ; =>  This Loop Header: Depth=2
                                        ;       Child Loop BB19_289 Depth 3
                                        ;       Child Loop BB19_346 Depth 3
	;; [unrolled: 1-line block ×4, first 2 shown]
	s_trap 2
.LBB19_289:                             ;   Parent Loop BB19_4 Depth=1
                                        ;     Parent Loop BB19_288 Depth=2
                                        ; =>    This Inner Loop Header: Depth=3
	ds_read_b32 v0, v0 offset:36
	s_waitcnt lgkmcnt(0)
	v_cmp_ne_u32_e32 vcc, 0, v0
	s_cbranch_vccnz .LBB19_289
; %bb.290:                              ;   in Loop: Header=BB19_288 Depth=2
	buffer_load_dword v0, off, s[0:3], s32 offset:64
	buffer_load_dword v1, off, s[0:3], s32 offset:68
	;; [unrolled: 1-line block ×6, first 2 shown]
	s_mov_b64 s[18:19], -1
	s_waitcnt vmcnt(0)
	ds_write2_b32 v0, v4, v34 offset0:7 offset1:8
	ds_write_b64 v0, v[0:1] offset:40
	v_cmp_lt_i32_e32 vcc, v6, v7
	s_and_saveexec_b64 s[26:27], vcc
	s_cbranch_execz .LBB19_324
; %bb.291:                              ;   in Loop: Header=BB19_288 Depth=2
	v_cmp_lt_i32_e32 vcc, 0, v5
                                        ; implicit-def: $sgpr28_sgpr29
	s_and_saveexec_b64 s[16:17], vcc
	s_xor_b64 s[44:45], exec, s[16:17]
	s_cbranch_execz .LBB19_317
; %bb.292:                              ;   in Loop: Header=BB19_288 Depth=2
	v_cmp_lt_i32_e32 vcc, 1, v5
                                        ; implicit-def: $sgpr28_sgpr29
	s_and_saveexec_b64 s[16:17], vcc
	s_xor_b64 s[16:17], exec, s[16:17]
	s_cbranch_execz .LBB19_304
; %bb.293:                              ;   in Loop: Header=BB19_288 Depth=2
	v_cmp_eq_u32_e32 vcc, 2, v5
	s_mov_b64 s[28:29], 0
	s_and_saveexec_b64 s[18:19], vcc
	s_cbranch_execz .LBB19_303
; %bb.294:                              ;   in Loop: Header=BB19_288 Depth=2
	buffer_load_dword v8, off, s[0:3], s32 offset:108
	buffer_load_dword v2, off, s[0:3], s32 offset:132
	;; [unrolled: 1-line block ×3, first 2 shown]
	v_sub_u32_e32 v12, 0, v6
	v_max_i32_e32 v15, v6, v12
                                        ; implicit-def: $vgpr16
	s_waitcnt vmcnt(2)
	v_sub_u32_e32 v9, 0, v8
	v_max_i32_e32 v9, v8, v9
	v_cvt_f32_u32_e32 v10, v9
	v_sub_u32_e32 v11, 0, v9
	s_waitcnt vmcnt(0)
	v_mul_lo_u32 v14, v2, v3
	v_ashrrev_i32_e32 v13, 31, v8
	v_rcp_iflag_f32_e32 v10, v10
	v_mul_f32_e32 v10, 0x4f7ffffe, v10
	v_cvt_u32_f32_e32 v10, v10
	v_mul_lo_u32 v11, v11, v10
	v_mul_hi_u32 v11, v10, v11
	v_add_u32_e32 v12, v10, v11
	v_mul_hi_u32 v10, v15, v12
	v_ashrrev_i32_e32 v11, 31, v6
	v_xor_b32_e32 v3, v11, v13
	v_mul_lo_u32 v2, v10, v9
	v_add_u32_e32 v11, 1, v10
	v_sub_u32_e32 v2, v15, v2
	v_cmp_ge_u32_e32 vcc, v2, v9
	v_cndmask_b32_e32 v10, v10, v11, vcc
	v_sub_u32_e32 v11, v2, v9
	v_cndmask_b32_e32 v2, v2, v11, vcc
	v_add_u32_e32 v11, 1, v10
	v_cmp_ge_u32_e32 vcc, v2, v9
	v_cndmask_b32_e32 v2, v10, v11, vcc
	v_xor_b32_e32 v2, v2, v3
	v_sub_u32_e32 v2, v2, v3
	v_mul_lo_u32 v3, v2, v8
	v_lshlrev_b32_e32 v15, 1, v6
	v_or_b32_e32 v10, 1, v15
	v_mul_lo_u32 v10, v14, v10
	v_sub_u32_e32 v17, v6, v3
	v_add_u32_e32 v3, -1, v8
	v_cmp_ne_u32_e32 vcc, v17, v3
                                        ; implicit-def: $vgpr11
	s_and_saveexec_b64 s[20:21], vcc
	s_xor_b64 s[20:21], exec, s[20:21]
	s_cbranch_execz .LBB19_296
; %bb.295:                              ;   in Loop: Header=BB19_288 Depth=2
	buffer_load_dword v11, off, s[0:3], s32 offset:100
	v_lshl_add_u32 v3, v14, 1, v10
	s_waitcnt vmcnt(0)
	v_cmp_ge_i32_e32 vcc, v3, v11
	v_cndmask_b32_e64 v16, 0, 1, vcc
.LBB19_296:                             ;   in Loop: Header=BB19_288 Depth=2
	s_andn2_saveexec_b64 s[20:21], s[20:21]
	s_cbranch_execz .LBB19_298
; %bb.297:                              ;   in Loop: Header=BB19_288 Depth=2
	buffer_load_dword v11, off, s[0:3], s32 offset:100
	v_mov_b32_e32 v16, 1
.LBB19_298:                             ;   in Loop: Header=BB19_288 Depth=2
	s_or_b64 exec, exec, s[20:21]
	buffer_load_dword v3, off, s[0:3], s32 offset:104
	buffer_load_dword v18, off, s[0:3], s32 offset:96
	;; [unrolled: 1-line block ×4, first 2 shown]
	s_waitcnt vmcnt(4)
	v_sub_u32_e32 v21, 0, v11
	v_max_i32_e32 v21, v11, v21
	v_cvt_f32_u32_e32 v22, v21
	v_sub_u32_e32 v23, 0, v21
	v_ffbl_b32_e32 v24, v10
	v_cmp_eq_u32_e32 vcc, 0, v14
	v_rcp_iflag_f32_e32 v22, v22
	v_mul_lo_u32 v25, v17, v4
	ds_write2_b32 v0, v34, v16 offset0:5 offset1:6
	ds_write2_b32 v0, v25, v2 offset0:3 offset1:4
	v_mul_f32_e32 v22, 0x4f7ffffe, v22
	v_cvt_u32_f32_e32 v22, v22
	v_mul_lo_u32 v23, v23, v22
	v_mul_hi_u32 v23, v22, v23
	v_add_u32_e32 v22, v22, v23
	s_waitcnt vmcnt(3)
	v_cndmask_b32_e32 v3, v24, v3, vcc
	v_lshl_add_u32 v23, -1, v3, v10
	s_waitcnt vmcnt(2)
	v_add3_u32 v18, v23, v11, v18
	v_sub_u32_e32 v24, 0, v18
	v_max_i32_e32 v24, v18, v24
	v_mul_hi_u32 v22, v24, v22
	v_ashrrev_i32_e32 v17, 31, v18
	v_ffbl_b32_e32 v2, v23
	v_mul_lo_u32 v22, v22, v21
	v_sub_u32_e32 v18, v24, v22
	v_sub_u32_e32 v22, v18, v21
	v_cmp_ge_u32_e32 vcc, v18, v21
	v_cndmask_b32_e32 v18, v18, v22, vcc
	v_sub_u32_e32 v22, v18, v21
	v_cmp_ge_u32_e32 vcc, v18, v21
	v_cndmask_b32_e32 v18, v18, v22, vcc
	v_xor_b32_e32 v18, v18, v17
	v_sub_u32_e32 v17, v18, v17
	v_ashrrev_i32_e32 v21, 31, v17
	s_waitcnt vmcnt(1)
	v_mul_lo_u32 v19, v19, v17
	s_waitcnt vmcnt(0)
	v_mad_u64_u32 v[17:18], s[20:21], v20, v17, v[0:1]
	v_mul_lo_u32 v20, v20, v21
	v_cmp_ne_u32_e32 vcc, 0, v23
	v_add3_u32 v18, v19, v18, v20
	ds_write2_b64 v0, v[2:3], v[17:18] offset1:6
	s_and_saveexec_b64 s[20:21], vcc
	s_xor_b64 s[20:21], exec, s[20:21]
	s_cbranch_execz .LBB19_300
; %bb.299:                              ;   in Loop: Header=BB19_288 Depth=2
	v_mul_lo_u32 v3, v14, v15
	v_add_u32_e32 v2, 1, v2
	v_ashrrev_i32_e32 v2, v2, v3
	v_sub_u32_e32 v3, 0, v2
	v_max_i32_e32 v3, v2, v3
	v_mul_hi_u32 v12, v3, v12
	v_ashrrev_i32_e32 v15, 31, v2
	v_xor_b32_e32 v13, v15, v13
	v_mul_lo_u32 v14, v12, v9
	v_add_u32_e32 v15, 1, v12
	v_sub_u32_e32 v3, v3, v14
	v_cmp_ge_u32_e32 vcc, v3, v9
	v_sub_u32_e32 v14, v3, v9
	v_cndmask_b32_e32 v12, v12, v15, vcc
	v_cndmask_b32_e32 v3, v3, v14, vcc
	v_add_u32_e32 v14, 1, v12
	v_cmp_ge_u32_e32 vcc, v3, v9
	v_cndmask_b32_e32 v3, v12, v14, vcc
	v_xor_b32_e32 v3, v3, v13
	v_sub_u32_e32 v3, v3, v13
	v_mul_lo_u32 v8, v3, v8
	v_sub_u32_e32 v2, v2, v8
	v_mul_lo_u32 v2, v2, v4
	ds_write2_b32 v0, v2, v3 offset0:2 offset1:4
.LBB19_300:                             ;   in Loop: Header=BB19_288 Depth=2
	s_andn2_saveexec_b64 s[20:21], s[20:21]
; %bb.301:                              ;   in Loop: Header=BB19_288 Depth=2
	ds_write_b32 v0, v52 offset:8
; %bb.302:                              ;   in Loop: Header=BB19_288 Depth=2
	s_or_b64 exec, exec, s[20:21]
	v_cmp_ge_i32_e32 vcc, v10, v11
	s_and_b64 s[28:29], vcc, exec
.LBB19_303:                             ;   in Loop: Header=BB19_288 Depth=2
	s_or_b64 exec, exec, s[18:19]
                                        ; implicit-def: $vgpr4
.LBB19_304:                             ;   in Loop: Header=BB19_288 Depth=2
	s_andn2_saveexec_b64 s[46:47], s[16:17]
	s_cbranch_execz .LBB19_316
; %bb.305:                              ;   in Loop: Header=BB19_288 Depth=2
	buffer_load_dword v3, off, s[0:3], s32 offset:132
	buffer_load_dword v8, off, s[0:3], s32 offset:100
	;; [unrolled: 1-line block ×8, first 2 shown]
	v_sub_u32_e32 v13, 0, v6
	v_ashrrev_i32_e32 v15, 31, v6
	v_max_i32_e32 v21, v6, v13
	s_waitcnt vmcnt(7)
	v_mul_lo_u32 v14, v3, v6
	s_waitcnt vmcnt(6)
	v_sub_u32_e32 v17, 0, v8
	s_waitcnt vmcnt(5)
	v_sub_u32_e32 v19, 0, v9
	v_max_i32_e32 v22, v8, v17
	v_max_i32_e32 v17, v9, v19
	v_cvt_f32_u32_e32 v19, v22
	v_cvt_f32_u32_e32 v24, v17
	v_ashrrev_i32_e32 v13, 31, v9
	v_xor_b32_e32 v23, v15, v13
	s_waitcnt vmcnt(4)
	v_add_u32_e32 v15, v14, v10
	v_ffbl_b32_e32 v26, v15
	v_cmp_eq_u32_e32 vcc, 0, v15
	v_add_u32_e32 v27, v15, v3
	s_waitcnt vmcnt(3)
	v_cndmask_b32_e32 v3, v26, v18, vcc
	v_rcp_iflag_f32_e32 v18, v19
	v_rcp_iflag_f32_e32 v24, v24
	v_cmp_ge_i32_e64 s[16:17], v27, v8
	v_cmp_gt_i32_e32 vcc, v27, v8
	v_mul_f32_e32 v18, 0x4f7ffffe, v18
	v_mul_f32_e32 v24, 0x4f7ffffe, v24
	v_cvt_u32_f32_e32 v27, v18
	v_cvt_u32_f32_e32 v24, v24
	v_sub_u32_e32 v20, 0, v22
	v_sub_u32_e32 v25, 0, v17
	v_mul_lo_u32 v20, v20, v27
	v_mul_lo_u32 v25, v25, v24
	v_lshlrev_b32_e64 v19, v3, -1
	v_add_u32_e32 v18, v19, v15
	s_waitcnt vmcnt(2)
	v_add3_u32 v29, v2, v8, v18
	v_mul_hi_u32 v2, v27, v20
	v_mul_hi_u32 v20, v24, v25
	v_sub_u32_e32 v25, 0, v29
	v_max_i32_e32 v25, v29, v25
	v_add_u32_e32 v2, v27, v2
	v_add_u32_e32 v20, v24, v20
	v_mul_hi_u32 v27, v21, v20
	v_mul_hi_u32 v24, v25, v2
	v_ashrrev_i32_e32 v29, 31, v29
	v_add_u32_e32 v16, -1, v9
	v_mul_lo_u32 v30, v27, v17
	v_mul_lo_u32 v24, v24, v22
	v_add_u32_e32 v31, 1, v27
	v_cndmask_b32_e64 v26, 0, 1, vcc
	v_sub_u32_e32 v21, v21, v30
	v_sub_u32_e32 v24, v25, v24
	v_cmp_ge_u32_e64 s[20:21], v21, v17
	v_sub_u32_e32 v30, v21, v17
	v_sub_u32_e32 v25, v24, v22
	v_cndmask_b32_e64 v27, v27, v31, s[20:21]
	v_cmp_ge_u32_e64 s[22:23], v24, v22
	v_cndmask_b32_e64 v21, v21, v30, s[20:21]
	v_cndmask_b32_e64 v24, v24, v25, s[22:23]
	v_add_u32_e32 v25, 1, v27
	v_cmp_ge_u32_e64 s[20:21], v21, v17
	v_cndmask_b32_e64 v21, v27, v25, s[20:21]
	v_xor_b32_e32 v21, v21, v23
	v_sub_u32_e32 v30, v24, v22
	v_cmp_ge_u32_e64 s[20:21], v24, v22
	v_sub_u32_e32 v21, v21, v23
	v_cndmask_b32_e64 v22, v24, v30, s[20:21]
	v_mul_lo_u32 v24, v21, v9
	v_xor_b32_e32 v22, v22, v29
	v_sub_u32_e32 v22, v22, v29
	v_ashrrev_i32_e32 v25, 31, v22
	s_waitcnt vmcnt(1)
	v_mul_lo_u32 v12, v12, v22
	s_waitcnt vmcnt(0)
	v_mad_u64_u32 v[22:23], s[20:21], v11, v22, v[0:1]
	v_mul_lo_u32 v25, v11, v25
	v_sub_u32_e32 v24, v6, v24
	v_mul_lo_u32 v11, v24, v4
	v_cmp_eq_u32_e64 s[22:23], v24, v16
	v_cmp_eq_u32_e32 vcc, 0, v3
	v_cmp_ne_u32_e64 s[20:21], v24, v16
	s_or_b64 s[16:17], s[22:23], s[16:17]
	v_cndmask_b32_e64 v28, 0, 1, vcc
	v_add3_u32 v23, v12, v23, v25
	v_cndmask_b32_e64 v12, 0, 1, s[16:17]
	s_and_b64 s[16:17], vcc, s[20:21]
	v_cmp_ne_u32_e64 s[18:19], 0, v18
	v_ffbl_b32_e32 v2, v18
	v_cndmask_b32_e64 v24, v28, v26, s[16:17]
	ds_write_b64 v0, v[22:23] offset:48
	ds_write_b32 v0, v12 offset:24
	v_mov_b32_e32 v12, v11
	v_cndmask_b32_e64 v21, v21, 0, vcc
	v_and_b32_e32 v22, 1, v24
	ds_write2_b64 v0, v[2:3], v[11:12] offset1:1
	ds_write_b64 v0, v[21:22] offset:16
	s_and_saveexec_b64 s[16:17], s[18:19]
	s_xor_b64 s[20:21], exec, s[16:17]
	s_cbranch_execz .LBB19_311
; %bb.306:                              ;   in Loop: Header=BB19_288 Depth=2
	v_sub_u32_e32 v3, 0, v10
	v_cmp_eq_u32_e64 s[16:17], v19, v3
	s_and_saveexec_b64 s[22:23], s[16:17]
	s_cbranch_execz .LBB19_310
; %bb.307:                              ;   in Loop: Header=BB19_288 Depth=2
	v_add_u32_e32 v3, 1, v2
	v_ashrrev_i32_e32 v10, v3, v14
	v_sub_u32_e32 v3, 0, v10
	v_max_i32_e32 v3, v10, v3
	v_mul_hi_u32 v11, v3, v20
	v_ashrrev_i32_e32 v14, 31, v10
	v_xor_b32_e32 v13, v14, v13
	v_mul_lo_u32 v12, v11, v17
	v_add_u32_e32 v14, 1, v11
	v_sub_u32_e32 v3, v3, v12
	v_cmp_ge_u32_e64 s[16:17], v3, v17
	v_sub_u32_e32 v12, v3, v17
	v_cndmask_b32_e64 v11, v11, v14, s[16:17]
	v_cndmask_b32_e64 v3, v3, v12, s[16:17]
	v_add_u32_e32 v12, 1, v11
	v_cmp_ge_u32_e64 s[16:17], v3, v17
	v_cndmask_b32_e64 v3, v11, v12, s[16:17]
	v_xor_b32_e32 v3, v3, v13
	v_sub_u32_e32 v3, v3, v13
	v_mul_lo_u32 v9, v3, v9
	v_sub_u32_e32 v9, v10, v9
	v_mul_lo_u32 v11, v9, v4
	v_mov_b32_e32 v4, 0
	ds_write_b32 v0, v11 offset:8
	s_and_saveexec_b64 s[56:57], vcc
; %bb.308:                              ;   in Loop: Header=BB19_288 Depth=2
	v_lshlrev_b32_e32 v3, 1, v10
	v_add_lshl_u32 v2, v3, 3, v2
	v_cmp_eq_u32_e64 s[16:17], v9, v16
	v_cmp_ge_i32_e64 s[18:19], v2, v8
	s_or_b64 s[16:17], s[16:17], s[18:19]
	v_cndmask_b32_e64 v4, 0, 1, s[16:17]
	v_mov_b32_e32 v3, 0
; %bb.309:                              ;   in Loop: Header=BB19_288 Depth=2
	s_or_b64 exec, exec, s[56:57]
	ds_write_b64 v0, v[3:4] offset:16
.LBB19_310:                             ;   in Loop: Header=BB19_288 Depth=2
	s_or_b64 exec, exec, s[22:23]
.LBB19_311:                             ;   in Loop: Header=BB19_288 Depth=2
	s_andn2_saveexec_b64 s[16:17], s[20:21]
; %bb.312:                              ;   in Loop: Header=BB19_288 Depth=2
	ds_write2_b32 v0, v52, v34 offset0:2 offset1:5
; %bb.313:                              ;   in Loop: Header=BB19_288 Depth=2
	s_or_b64 exec, exec, s[16:17]
	v_cmp_ge_i32_e64 s[18:19], v15, v8
	v_cmp_lt_i32_e64 s[16:17], v18, v8
	s_and_b64 s[16:17], s[18:19], s[16:17]
	s_and_b64 s[20:21], vcc, s[16:17]
	s_and_saveexec_b64 s[16:17], s[20:21]
	s_cbranch_execz .LBB19_315
; %bb.314:                              ;   in Loop: Header=BB19_288 Depth=2
	s_andn2_b64 s[18:19], s[18:19], exec
	ds_write2_b32 v0, v52, v52 offset0:1 offset1:3
	ds_write_b32 v0, v34 offset:24
.LBB19_315:                             ;   in Loop: Header=BB19_288 Depth=2
	s_or_b64 exec, exec, s[16:17]
	s_andn2_b64 s[16:17], s[28:29], exec
	s_and_b64 s[18:19], s[18:19], exec
	s_or_b64 s[28:29], s[16:17], s[18:19]
.LBB19_316:                             ;   in Loop: Header=BB19_288 Depth=2
	s_or_b64 exec, exec, s[46:47]
                                        ; implicit-def: $vgpr4
.LBB19_317:                             ;   in Loop: Header=BB19_288 Depth=2
	s_andn2_saveexec_b64 s[16:17], s[44:45]
	s_cbranch_execz .LBB19_323
; %bb.318:                              ;   in Loop: Header=BB19_288 Depth=2
	v_cmp_eq_u32_e32 vcc, 0, v5
	s_mov_b64 s[20:21], 0
	s_and_saveexec_b64 s[18:19], vcc
	s_cbranch_execz .LBB19_322
; %bb.319:                              ;   in Loop: Header=BB19_288 Depth=2
	buffer_load_dword v8, off, s[0:3], s32 offset:100
	buffer_load_dword v12, off, s[0:3], s32 offset:108
	;; [unrolled: 1-line block ×7, first 2 shown]
	v_sub_u32_e32 v18, 0, v6
	v_max_i32_e32 v18, v6, v18
	v_ashrrev_i32_e32 v17, 31, v6
	v_mov_b32_e32 v35, v34
	ds_write_b32 v0, v34 offset:16
	s_waitcnt vmcnt(6)
	v_sub_u32_e32 v3, 0, v8
	s_waitcnt vmcnt(5)
	v_sub_u32_e32 v14, 0, v12
	v_max_i32_e32 v15, v8, v3
	v_max_i32_e32 v14, v12, v14
	v_cvt_f32_u32_e32 v3, v15
	v_cvt_f32_u32_e32 v16, v14
	v_sub_u32_e32 v20, 0, v14
	v_rcp_iflag_f32_e32 v19, v3
	v_rcp_iflag_f32_e32 v16, v16
	s_waitcnt vmcnt(3)
	v_mad_u64_u32 v[2:3], s[20:21], v9, v6, v[2:3]
	v_mul_f32_e32 v3, 0x4f7ffffe, v19
	v_mul_f32_e32 v16, 0x4f7ffffe, v16
	v_cvt_u32_f32_e32 v3, v3
	v_cvt_u32_f32_e32 v16, v16
	v_sub_u32_e32 v19, 0, v15
	s_waitcnt vmcnt(2)
	v_add_u32_e32 v21, v13, v2
	v_mul_lo_u32 v19, v19, v3
	v_mul_lo_u32 v20, v20, v16
	v_mul_hi_u32 v13, v3, v19
	v_mul_hi_u32 v19, v16, v20
	v_sub_u32_e32 v20, 0, v21
	v_max_i32_e32 v20, v21, v20
	v_add_u32_e32 v3, v3, v13
	v_add_u32_e32 v13, v16, v19
	v_mul_hi_u32 v3, v20, v3
	v_mul_hi_u32 v16, v18, v13
	v_add_u32_e32 v19, -1, v12
	v_ashrrev_i32_e32 v12, 31, v21
	v_mul_lo_u32 v3, v3, v15
	v_mul_lo_u32 v16, v16, v14
	v_mov_b32_e32 v13, v52
	v_sub_u32_e32 v3, v20, v3
	v_sub_u32_e32 v16, v18, v16
	;; [unrolled: 1-line block ×3, first 2 shown]
	v_cmp_ge_u32_e32 vcc, v3, v15
	v_sub_u32_e32 v20, v16, v14
	v_cndmask_b32_e32 v3, v3, v18, vcc
	v_cmp_ge_u32_e32 vcc, v16, v14
	v_cndmask_b32_e32 v16, v16, v20, vcc
	v_sub_u32_e32 v18, v3, v15
	v_cmp_ge_u32_e32 vcc, v3, v15
	v_cndmask_b32_e32 v3, v3, v18, vcc
	v_xor_b32_e32 v3, v3, v12
	v_sub_u32_e32 v20, v16, v14
	v_cmp_ge_u32_e32 vcc, v16, v14
	v_sub_u32_e32 v3, v3, v12
	v_cndmask_b32_e32 v14, v16, v20, vcc
	v_ashrrev_i32_e32 v12, 31, v3
	v_xor_b32_e32 v16, v14, v17
	s_waitcnt vmcnt(1)
	v_mul_lo_u32 v11, v11, v3
	s_waitcnt vmcnt(0)
	v_mad_u64_u32 v[14:15], s[20:21], v10, v3, v[0:1]
	v_mul_lo_u32 v3, v10, v12
	v_sub_u32_e32 v10, v16, v17
	v_mul_lo_u32 v12, v10, v4
	v_cmp_ne_u32_e32 vcc, v10, v19
	v_add3_u32 v15, v11, v15, v3
	ds_write2_b64 v0, v[34:35], v[14:15] offset0:5 offset1:6
	v_mov_b32_e32 v35, v52
	v_mov_b32_e32 v3, 1
	ds_write2_b64 v0, v[34:35], v[12:13] offset1:1
	s_and_saveexec_b64 s[20:21], vcc
; %bb.320:                              ;   in Loop: Header=BB19_288 Depth=2
	v_add_u32_e32 v3, v2, v9
	v_cmp_ge_i32_e32 vcc, v3, v8
	v_cndmask_b32_e64 v3, 0, 1, vcc
; %bb.321:                              ;   in Loop: Header=BB19_288 Depth=2
	s_or_b64 exec, exec, s[20:21]
	v_cmp_ge_i32_e32 vcc, v2, v8
	s_and_b64 s[20:21], vcc, exec
	ds_write2_b32 v0, v3, v34 offset0:5 offset1:6
.LBB19_322:                             ;   in Loop: Header=BB19_288 Depth=2
	s_or_b64 exec, exec, s[18:19]
	s_andn2_b64 s[18:19], s[28:29], exec
	s_and_b64 s[20:21], s[20:21], exec
	s_or_b64 s[28:29], s[18:19], s[20:21]
.LBB19_323:                             ;   in Loop: Header=BB19_288 Depth=2
	s_or_b64 exec, exec, s[16:17]
	s_orn2_b64 s[18:19], s[28:29], exec
.LBB19_324:                             ;   in Loop: Header=BB19_288 Depth=2
	s_or_b64 exec, exec, s[26:27]
	buffer_load_dword v2, off, s[0:3], s32 offset:116
	v_add_u32_e32 v3, 1, v6
	buffer_store_dword v3, off, s[0:3], s32 offset:128
                                        ; implicit-def: $sgpr26_sgpr27
	s_waitcnt vmcnt(1)
	v_max_i32_e32 v4, v7, v2
	v_cmp_le_i32_e32 vcc, v4, v3
	s_and_saveexec_b64 s[16:17], vcc
	s_xor_b64 s[20:21], exec, s[16:17]
	s_cbranch_execz .LBB19_376
; %bb.325:                              ;   in Loop: Header=BB19_288 Depth=2
	v_cmp_lt_i32_e32 vcc, 1, v5
                                        ; implicit-def: $vgpr2
	s_and_saveexec_b64 s[16:17], vcc
	s_xor_b64 s[16:17], exec, s[16:17]
	s_cbranch_execz .LBB19_329
; %bb.326:                              ;   in Loop: Header=BB19_288 Depth=2
	v_cmp_eq_u32_e32 vcc, 2, v5
	v_mov_b32_e32 v2, 1
	s_and_saveexec_b64 s[22:23], vcc
	s_cbranch_execz .LBB19_328
; %bb.327:                              ;   in Loop: Header=BB19_288 Depth=2
	buffer_load_dword v2, off, s[0:3], s32 offset:136
	s_waitcnt vmcnt(0)
	v_lshrrev_b32_e32 v3, 31, v2
	v_add_u32_e32 v4, 1, v2
	v_add_u32_e32 v2, v2, v3
	v_ashrrev_i32_e32 v2, 1, v2
	v_cmp_gt_u32_e32 vcc, 3, v4
	buffer_store_dword v2, off, s[0:3], s32 offset:136
	v_cndmask_b32_e64 v2, 2, 1, vcc
.LBB19_328:                             ;   in Loop: Header=BB19_288 Depth=2
	s_or_b64 exec, exec, s[22:23]
.LBB19_329:                             ;   in Loop: Header=BB19_288 Depth=2
	s_andn2_saveexec_b64 s[16:17], s[16:17]
	s_cbranch_execz .LBB19_333
; %bb.330:                              ;   in Loop: Header=BB19_288 Depth=2
	v_mov_b32_e32 v2, 1
	v_cmp_eq_u32_e32 vcc, 1, v5
	s_and_saveexec_b64 s[22:23], vcc
	s_cbranch_execz .LBB19_332
; %bb.331:                              ;   in Loop: Header=BB19_288 Depth=2
	buffer_load_dword v2, off, s[0:3], s32 offset:124
	s_waitcnt vmcnt(0)
	v_and_b32_e32 v2, 0x80000001, v2
	v_cmp_ne_u32_e32 vcc, 1, v2
	v_cndmask_b32_e64 v2, 0, 1, vcc
.LBB19_332:                             ;   in Loop: Header=BB19_288 Depth=2
	s_or_b64 exec, exec, s[22:23]
.LBB19_333:                             ;   in Loop: Header=BB19_288 Depth=2
	s_or_b64 exec, exec, s[16:17]
	v_cmp_eq_u32_e32 vcc, 0, v5
	v_cmp_ne_u32_e64 s[22:23], 0, v5
	s_mov_b64 s[16:17], -1
	buffer_store_dword v2, off, s[0:3], s32 offset:140
	s_and_saveexec_b64 s[26:27], s[22:23]
	s_cbranch_execnz .LBB19_338
; %bb.334:                              ;   in Loop: Header=BB19_288 Depth=2
	s_or_b64 exec, exec, s[26:27]
	s_and_saveexec_b64 s[26:27], s[16:17]
	s_cbranch_execnz .LBB19_341
.LBB19_335:                             ;   in Loop: Header=BB19_288 Depth=2
	s_or_b64 exec, exec, s[26:27]
	s_mov_b64 s[16:17], 0
	s_and_saveexec_b64 s[26:27], vcc
	s_cbranch_execnz .LBB19_352
.LBB19_336:                             ;   in Loop: Header=BB19_288 Depth=2
	s_or_b64 exec, exec, s[26:27]
	s_and_saveexec_b64 s[26:27], s[22:23]
	s_xor_b64 s[22:23], exec, s[26:27]
	s_cbranch_execnz .LBB19_353
.LBB19_337:                             ;   in Loop: Header=BB19_288 Depth=2
	s_or_b64 exec, exec, s[22:23]
	s_mov_b64 s[26:27], 0
	s_and_saveexec_b64 s[22:23], s[16:17]
	s_cbranch_execnz .LBB19_356
	s_branch .LBB19_375
.LBB19_338:                             ;   in Loop: Header=BB19_288 Depth=2
	v_cmp_eq_u32_e64 s[16:17], 1, v5
	s_mov_b64 s[44:45], 0
	s_and_saveexec_b64 s[28:29], s[16:17]
	s_cbranch_execz .LBB19_340
; %bb.339:                              ;   in Loop: Header=BB19_288 Depth=2
	buffer_load_dword v3, off, s[0:3], s32 offset:124
	s_waitcnt vmcnt(0)
	v_and_b32_e32 v3, 1, v3
	v_cmp_eq_u32_e64 s[16:17], 0, v3
	s_and_b64 s[44:45], s[16:17], exec
.LBB19_340:                             ;   in Loop: Header=BB19_288 Depth=2
	s_or_b64 exec, exec, s[28:29]
	s_orn2_b64 s[16:17], s[44:45], exec
	s_or_b64 exec, exec, s[26:27]
	s_and_saveexec_b64 s[26:27], s[16:17]
	s_cbranch_execz .LBB19_335
.LBB19_341:                             ;   in Loop: Header=BB19_288 Depth=2
	buffer_load_dword v3, off, s[0:3], s32 offset:144
	buffer_load_dword v4, off, s[0:3], s32 offset:148
	s_waitcnt vmcnt(1)
	v_cmp_lt_i32_e64 s[16:17], 0, v3
	s_and_saveexec_b64 s[28:29], s[16:17]
	s_cbranch_execz .LBB19_351
; %bb.342:                              ;   in Loop: Header=BB19_288 Depth=2
	s_mov_b32 s61, 0
	s_mov_b64 s[44:45], 0
	s_mov_b32 s62, s34
	s_branch .LBB19_346
.LBB19_343:                             ;   in Loop: Header=BB19_346 Depth=3
	s_or_b64 exec, exec, s[58:59]
	v_add_u32_e32 v4, 1, v6
	v_mov_b32_e32 v6, s62
	buffer_store_dword v4, v6, s[0:3], 0 offen offset:128
.LBB19_344:                             ;   in Loop: Header=BB19_346 Depth=3
	s_or_b64 exec, exec, s[56:57]
	v_mov_b32_e32 v4, v5
.LBB19_345:                             ;   in Loop: Header=BB19_346 Depth=3
	s_or_b64 exec, exec, s[46:47]
	s_add_i32 s61, s61, 1
	s_add_i32 s62, s62, 4
	v_cmp_eq_u32_e64 s[16:17], s61, v3
	s_or_b64 s[44:45], s[16:17], s[44:45]
	s_andn2_b64 exec, exec, s[44:45]
	s_cbranch_execz .LBB19_350
.LBB19_346:                             ;   Parent Loop BB19_4 Depth=1
                                        ;     Parent Loop BB19_288 Depth=2
                                        ; =>    This Inner Loop Header: Depth=3
	v_mov_b32_e32 v5, s62
	buffer_load_dword v6, v5, s[0:3], 0 offen
	s_waitcnt vmcnt(0)
	v_add_u32_e32 v6, -1, v6
	v_cmp_eq_u32_e64 s[16:17], 0, v6
	buffer_store_dword v6, v5, s[0:3], 0 offen
	s_and_saveexec_b64 s[46:47], s[16:17]
	s_cbranch_execz .LBB19_345
; %bb.347:                              ;   in Loop: Header=BB19_346 Depth=3
	s_lshl_b32 s63, 1, s61
	v_xor_b32_e32 v5, s63, v4
	v_mov_b32_e32 v6, s63
	v_mov_b32_e32 v7, s62
	buffer_store_dword v5, off, s[0:3], s32 offset:148
	buffer_store_dword v6, v7, s[0:3], 0 offen
	v_and_b32_e32 v6, s63, v4
	v_cmp_ne_u32_e64 s[16:17], 0, v6
	s_and_saveexec_b64 s[56:57], s[16:17]
	s_cbranch_execz .LBB19_344
; %bb.348:                              ;   in Loop: Header=BB19_346 Depth=3
	v_mov_b32_e32 v7, s62
	buffer_load_dword v6, v7, s[0:3], 0 offen offset:128
	s_waitcnt vmcnt(0)
	v_ffbl_b32_e32 v8, v6
	v_cmp_eq_u32_e64 s[16:17], 0, v6
	v_cndmask_b32_e64 v8, v8, v3, s[16:17]
	v_add3_u32 v8, s63, -1, v8
	v_cmp_eq_u32_e64 s[16:17], 0, v8
	buffer_store_dword v8, v7, s[0:3], 0 offen
	s_and_saveexec_b64 s[58:59], s[16:17]
	s_cbranch_execz .LBB19_343
; %bb.349:                              ;   in Loop: Header=BB19_346 Depth=3
	v_mov_b32_e32 v5, s63
	v_mov_b32_e32 v7, s62
	buffer_store_dword v4, off, s[0:3], s32 offset:148
	buffer_store_dword v5, v7, s[0:3], 0 offen
	v_mov_b32_e32 v5, v4
	s_branch .LBB19_343
.LBB19_350:                             ;   in Loop: Header=BB19_288 Depth=2
	s_or_b64 exec, exec, s[44:45]
.LBB19_351:                             ;   in Loop: Header=BB19_288 Depth=2
	s_or_b64 exec, exec, s[28:29]
	s_waitcnt vmcnt(0)
	buffer_store_dword v4, off, s[0:3], s32 offset:124
	s_or_b64 exec, exec, s[26:27]
	s_mov_b64 s[16:17], 0
	s_and_saveexec_b64 s[26:27], vcc
	s_cbranch_execz .LBB19_336
.LBB19_352:                             ;   in Loop: Header=BB19_288 Depth=2
	buffer_load_dword v3, off, s[0:3], s32 offset:132
	buffer_load_dword v4, off, s[0:3], s32 offset:124
	s_andn2_b64 s[22:23], s[22:23], exec
	s_mov_b64 s[16:17], exec
	s_waitcnt vmcnt(1)
	v_lshrrev_b32_e32 v5, 31, v3
	v_add_u32_e32 v3, v3, v5
	v_ashrrev_i32_e32 v3, 1, v3
	s_waitcnt vmcnt(0)
	v_cmp_ne_u32_e32 vcc, v4, v3
	s_and_b64 s[28:29], vcc, exec
	s_or_b64 s[22:23], s[22:23], s[28:29]
	s_or_b64 exec, exec, s[26:27]
	s_and_saveexec_b64 s[26:27], s[22:23]
	s_xor_b64 s[22:23], exec, s[26:27]
	s_cbranch_execz .LBB19_337
.LBB19_353:                             ;   in Loop: Header=BB19_288 Depth=2
	buffer_load_dword v3, off, s[0:3], s32 offset:120
	v_cmp_lt_u32_e32 vcc, 1, v2
	buffer_store_dword v34, off, s[0:3], s32 offset:128
	s_waitcnt vmcnt(1)
	buffer_store_dword v3, off, s[0:3], s32 offset:112
	s_and_saveexec_b64 s[26:27], vcc
	s_cbranch_execz .LBB19_355
; %bb.354:                              ;   in Loop: Header=BB19_288 Depth=2
	buffer_load_dword v2, off, s[0:3], s32 offset:136
	v_sub_u32_e32 v7, 0, v3
	v_max_i32_e32 v7, v3, v7
	s_waitcnt vmcnt(0)
	v_lshlrev_b32_e32 v2, 1, v2
	v_sub_u32_e32 v4, 0, v2
	v_max_i32_e32 v4, v2, v4
	v_cvt_f32_u32_e32 v5, v4
	v_sub_u32_e32 v6, 0, v4
	v_xor_b32_e32 v2, v3, v2
	v_ashrrev_i32_e32 v2, 31, v2
	v_rcp_iflag_f32_e32 v5, v5
	v_mul_f32_e32 v5, 0x4f7ffffe, v5
	v_cvt_u32_f32_e32 v5, v5
	v_mul_lo_u32 v6, v6, v5
	v_mul_hi_u32 v6, v5, v6
	v_add_u32_e32 v5, v5, v6
	v_mul_hi_u32 v5, v7, v5
	v_mul_lo_u32 v6, v5, v4
	v_add_u32_e32 v3, 1, v5
	v_sub_u32_e32 v6, v7, v6
	v_cmp_ge_u32_e32 vcc, v6, v4
	v_cndmask_b32_e32 v3, v5, v3, vcc
	v_sub_u32_e32 v5, v6, v4
	v_cndmask_b32_e32 v5, v6, v5, vcc
	v_add_u32_e32 v6, 1, v3
	v_cmp_ge_u32_e32 vcc, v5, v4
	v_cndmask_b32_e32 v3, v3, v6, vcc
	v_xor_b32_e32 v3, v3, v2
	v_sub_u32_e32 v2, v3, v2
	buffer_store_dword v2, off, s[0:3], s32 offset:112
.LBB19_355:                             ;   in Loop: Header=BB19_288 Depth=2
	s_or_b64 exec, exec, s[26:27]
	s_andn2_b64 s[16:17], s[16:17], exec
	s_or_b64 exec, exec, s[22:23]
	s_mov_b64 s[26:27], 0
	s_and_saveexec_b64 s[22:23], s[16:17]
	s_cbranch_execz .LBB19_375
.LBB19_356:                             ;   in Loop: Header=BB19_288 Depth=2
	buffer_load_dword v2, off, s[0:3], s32 offset:88
	buffer_load_dword v4, off, s[0:3], s32 offset:72
	buffer_load_dword v5, off, s[0:3], s32 offset:76
	s_waitcnt vmcnt(2)
	v_ashrrev_i32_e32 v3, 31, v2
	v_add_co_u32_e32 v0, vcc, v0, v2
	v_addc_co_u32_e32 v1, vcc, v1, v3, vcc
	s_waitcnt vmcnt(0)
	v_cmp_le_u64_e32 vcc, v[4:5], v[0:1]
	buffer_store_dword v1, off, s[0:3], s32 offset:68
	buffer_store_dword v0, off, s[0:3], s32 offset:64
	s_and_saveexec_b64 s[16:17], vcc
	s_xor_b64 s[16:17], exec, s[16:17]
; %bb.357:                              ;   in Loop: Header=BB19_288 Depth=2
	ds_write_b32 v0, v33 offset:32
                                        ; implicit-def: $vgpr4_vgpr5
                                        ; implicit-def: $vgpr0
                                        ; implicit-def: $vgpr2_vgpr3
; %bb.358:                              ;   in Loop: Header=BB19_288 Depth=2
	s_or_saveexec_b64 s[26:27], s[16:17]
	s_mov_b64 s[16:17], -1
	s_xor_b64 exec, exec, s[26:27]
	s_cbranch_execz .LBB19_374
; %bb.359:                              ;   in Loop: Header=BB19_288 Depth=2
	buffer_load_dword v6, off, s[0:3], s32 offset:120
	buffer_load_dword v7, off, s[0:3], s32 offset:144
	v_sub_co_u32_e32 v4, vcc, v4, v0
	v_subb_co_u32_e32 v5, vcc, v5, v1, vcc
	v_cmp_lt_i64_e32 vcc, v[2:3], v[4:5]
	v_mov_b32_e32 v1, 0
	v_cndmask_b32_e32 v0, v4, v2, vcc
	buffer_store_dword v1, off, s[0:3], s32 offset:148
	buffer_store_dword v0, off, s[0:3], s32 offset:92
	s_waitcnt vmcnt(3)
	v_lshrrev_b32_e32 v0, 31, v6
	v_add_u32_e32 v2, -2, v6
	v_add_u32_e32 v0, v6, v0
	v_cmp_gt_u32_e32 vcc, -3, v2
	v_cndmask_b32_e64 v2, 1, 2, vcc
	v_ashrrev_i32_e32 v0, 1, v0
	s_waitcnt vmcnt(2)
	v_cmp_lt_i32_e64 s[16:17], 0, v7
	buffer_store_dword v2, off, s[0:3], s32 offset:140
	buffer_store_dword v0, off, s[0:3], s32 offset:136
	s_and_saveexec_b64 s[28:29], s[16:17]
	s_cbranch_execz .LBB19_371
; %bb.360:                              ;   in Loop: Header=BB19_288 Depth=2
	s_mov_b64 s[44:45], 0
	v_mov_b32_e32 v1, v7
	s_mov_b32 s46, s34
.LBB19_361:                             ;   Parent Loop BB19_4 Depth=1
                                        ;     Parent Loop BB19_288 Depth=2
                                        ; =>    This Inner Loop Header: Depth=3
	v_mov_b32_e32 v2, s46
	buffer_store_dword v1, v2, s[0:3], 0 offen
	v_add_u32_e32 v1, -1, v1
	s_add_i32 s46, s46, 4
	v_cmp_eq_u32_e64 s[16:17], 0, v1
	s_or_b64 s[44:45], s[16:17], s[44:45]
	buffer_store_dword v56, v2, s[0:3], 0 offen offset:128
	s_andn2_b64 exec, exec, s[44:45]
	s_cbranch_execnz .LBB19_361
; %bb.362:                              ;   in Loop: Header=BB19_288 Depth=2
	s_or_b64 exec, exec, s[44:45]
	v_mov_b32_e32 v1, 0
	s_mov_b64 s[44:45], 0
	s_mov_b32 s61, 0
	s_mov_b32 s62, s34
	s_branch .LBB19_366
.LBB19_363:                             ;   in Loop: Header=BB19_366 Depth=3
	s_or_b64 exec, exec, s[58:59]
	v_add_u32_e32 v1, 1, v3
	v_mov_b32_e32 v3, s62
	buffer_store_dword v1, v3, s[0:3], 0 offen offset:128
.LBB19_364:                             ;   in Loop: Header=BB19_366 Depth=3
	s_or_b64 exec, exec, s[56:57]
	v_mov_b32_e32 v1, v2
.LBB19_365:                             ;   in Loop: Header=BB19_366 Depth=3
	s_or_b64 exec, exec, s[46:47]
	s_add_i32 s61, s61, 1
	s_add_i32 s62, s62, 4
	v_cmp_eq_u32_e64 s[16:17], s61, v7
	s_or_b64 s[44:45], s[16:17], s[44:45]
	s_andn2_b64 exec, exec, s[44:45]
	s_cbranch_execz .LBB19_370
.LBB19_366:                             ;   Parent Loop BB19_4 Depth=1
                                        ;     Parent Loop BB19_288 Depth=2
                                        ; =>    This Inner Loop Header: Depth=3
	v_mov_b32_e32 v2, s62
	buffer_load_dword v3, v2, s[0:3], 0 offen
	s_waitcnt vmcnt(0)
	v_add_u32_e32 v3, -1, v3
	v_cmp_eq_u32_e64 s[16:17], 0, v3
	buffer_store_dword v3, v2, s[0:3], 0 offen
	s_and_saveexec_b64 s[46:47], s[16:17]
	s_cbranch_execz .LBB19_365
; %bb.367:                              ;   in Loop: Header=BB19_366 Depth=3
	s_lshl_b32 s63, 1, s61
	v_xor_b32_e32 v2, s63, v1
	v_mov_b32_e32 v3, s63
	v_mov_b32_e32 v4, s62
	buffer_store_dword v2, off, s[0:3], s32 offset:148
	buffer_store_dword v3, v4, s[0:3], 0 offen
	v_and_b32_e32 v3, s63, v1
	v_cmp_ne_u32_e64 s[16:17], 0, v3
	s_and_saveexec_b64 s[56:57], s[16:17]
	s_cbranch_execz .LBB19_364
; %bb.368:                              ;   in Loop: Header=BB19_366 Depth=3
	v_mov_b32_e32 v4, s62
	buffer_load_dword v3, v4, s[0:3], 0 offen offset:128
	s_waitcnt vmcnt(0)
	v_ffbl_b32_e32 v5, v3
	v_cmp_eq_u32_e64 s[16:17], 0, v3
	v_cndmask_b32_e64 v5, v5, v7, s[16:17]
	v_add3_u32 v5, s63, -1, v5
	v_cmp_eq_u32_e64 s[16:17], 0, v5
	buffer_store_dword v5, v4, s[0:3], 0 offen
	s_and_saveexec_b64 s[58:59], s[16:17]
	s_cbranch_execz .LBB19_363
; %bb.369:                              ;   in Loop: Header=BB19_366 Depth=3
	v_mov_b32_e32 v2, s63
	v_mov_b32_e32 v4, s62
	buffer_store_dword v1, off, s[0:3], s32 offset:148
	buffer_store_dword v2, v4, s[0:3], 0 offen
	v_mov_b32_e32 v2, v1
	s_branch .LBB19_363
.LBB19_370:                             ;   in Loop: Header=BB19_288 Depth=2
	s_or_b64 exec, exec, s[44:45]
.LBB19_371:                             ;   in Loop: Header=BB19_288 Depth=2
	s_or_b64 exec, exec, s[28:29]
	buffer_store_dword v1, off, s[0:3], s32 offset:124
	buffer_store_dword v34, off, s[0:3], s32 offset:128
	s_and_saveexec_b64 s[16:17], vcc
	s_cbranch_execz .LBB19_373
; %bb.372:                              ;   in Loop: Header=BB19_288 Depth=2
	v_ashrrev_i32_e32 v1, 31, v0
	v_lshl_add_u32 v0, v0, 1, v1
	v_xor_b32_e32 v0, v0, v1
	v_cvt_f32_u32_e32 v2, v0
	v_sub_u32_e32 v3, 0, v0
	v_sub_u32_e32 v4, 0, v6
	v_max_i32_e32 v4, v6, v4
	v_rcp_iflag_f32_e32 v2, v2
	v_ashrrev_i32_e32 v5, 31, v6
	v_xor_b32_e32 v1, v5, v1
	v_mul_f32_e32 v2, 0x4f7ffffe, v2
	v_cvt_u32_f32_e32 v2, v2
	v_mul_lo_u32 v3, v3, v2
	v_mul_hi_u32 v3, v2, v3
	v_add_u32_e32 v2, v2, v3
	v_mul_hi_u32 v2, v4, v2
	v_mul_lo_u32 v3, v2, v0
	v_add_u32_e32 v5, 1, v2
	v_sub_u32_e32 v3, v4, v3
	v_cmp_ge_u32_e32 vcc, v3, v0
	v_sub_u32_e32 v4, v3, v0
	v_cndmask_b32_e32 v2, v2, v5, vcc
	v_cndmask_b32_e32 v3, v3, v4, vcc
	v_add_u32_e32 v4, 1, v2
	v_cmp_ge_u32_e32 vcc, v3, v0
	v_cndmask_b32_e32 v0, v2, v4, vcc
	v_xor_b32_e32 v0, v0, v1
	v_sub_u32_e32 v6, v0, v1
.LBB19_373:                             ;   in Loop: Header=BB19_288 Depth=2
	s_or_b64 exec, exec, s[16:17]
	s_xor_b64 s[16:17], exec, -1
	buffer_store_dword v6, off, s[0:3], s32 offset:112
.LBB19_374:                             ;   in Loop: Header=BB19_288 Depth=2
	s_or_b64 exec, exec, s[26:27]
	s_and_b64 s[26:27], s[16:17], exec
.LBB19_375:                             ;   in Loop: Header=BB19_288 Depth=2
	s_or_b64 exec, exec, s[22:23]
                                        ; implicit-def: $vgpr5
                                        ; implicit-def: $vgpr0_vgpr1
                                        ; implicit-def: $vgpr7
                                        ; implicit-def: $vgpr2
                                        ; implicit-def: $vgpr6
.LBB19_376:                             ;   in Loop: Header=BB19_288 Depth=2
	s_andn2_saveexec_b64 s[20:21], s[20:21]
	s_cbranch_execz .LBB19_287
; %bb.377:                              ;   in Loop: Header=BB19_288 Depth=2
	buffer_load_dword v3, off, s[0:3], s32 offset:124
	v_cmp_eq_u32_e32 vcc, 0, v5
	s_waitcnt vmcnt(0)
	v_cmp_eq_u32_e64 s[16:17], 1, v3
	s_and_b64 s[22:23], vcc, s[16:17]
	s_and_saveexec_b64 s[16:17], s[22:23]
	s_cbranch_execz .LBB19_286
; %bb.378:                              ;   in Loop: Header=BB19_288 Depth=2
	buffer_load_dword v5, off, s[0:3], s32 offset:88
	buffer_load_dword v3, off, s[0:3], s32 offset:72
	;; [unrolled: 1-line block ×3, first 2 shown]
	s_waitcnt vmcnt(2)
	v_ashrrev_i32_e32 v8, 31, v5
	v_add_co_u32_e32 v0, vcc, v0, v5
	v_addc_co_u32_e32 v1, vcc, v1, v8, vcc
	s_waitcnt vmcnt(0)
	v_cmp_ge_u64_e32 vcc, v[0:1], v[3:4]
	s_and_b64 exec, exec, vcc
	s_cbranch_execz .LBB19_286
; %bb.379:                              ;   in Loop: Header=BB19_288 Depth=2
	v_sub_u32_e32 v0, 0, v2
	v_max_i32_e32 v0, v2, v0
	v_cvt_f32_u32_e32 v1, v0
	v_sub_u32_e32 v2, 0, v0
	v_add_u32_e32 v3, -1, v7
	v_sub_u32_e32 v4, 1, v7
	v_rcp_iflag_f32_e32 v1, v1
	v_max_i32_e32 v4, v3, v4
	v_mul_f32_e32 v1, 0x4f7ffffe, v1
	v_cvt_u32_f32_e32 v1, v1
	v_mul_lo_u32 v2, v2, v1
	v_mul_hi_u32 v2, v1, v2
	v_add_u32_e32 v1, v1, v2
	v_mul_hi_u32 v1, v4, v1
	v_ashrrev_i32_e32 v2, 31, v3
	v_mul_lo_u32 v1, v1, v0
	v_sub_u32_e32 v1, v4, v1
	v_sub_u32_e32 v4, v1, v0
	v_cmp_ge_u32_e32 vcc, v1, v0
	v_cndmask_b32_e32 v1, v1, v4, vcc
	v_sub_u32_e32 v4, v1, v0
	v_cmp_ge_u32_e32 vcc, v1, v0
	v_cndmask_b32_e32 v0, v1, v4, vcc
	v_xor_b32_e32 v0, v0, v2
	v_sub_u32_e32 v0, v2, v0
	v_add_u32_e32 v0, v3, v0
	v_cmp_ge_i32_e32 vcc, v6, v0
	s_and_b64 exec, exec, vcc
	s_cbranch_execz .LBB19_286
; %bb.380:                              ;   in Loop: Header=BB19_288 Depth=2
	ds_write_b32 v0, v56 offset:32
	s_branch .LBB19_286
.LBB19_381:
	buffer_load_dword v62, off, s[0:3], s32 ; 4-byte Folded Reload
	buffer_load_dword v61, off, s[0:3], s32 offset:4 ; 4-byte Folded Reload
	buffer_load_dword v60, off, s[0:3], s32 offset:8 ; 4-byte Folded Reload
	;; [unrolled: 1-line block ×14, first 2 shown]
	v_readlane_b32 s30, v63, 34
	v_readlane_b32 s31, v63, 35
	;; [unrolled: 1-line block ×36, first 2 shown]
	s_or_saveexec_b64 s[4:5], -1
	buffer_load_dword v63, off, s[0:3], s32 offset:468 ; 4-byte Folded Reload
	s_mov_b64 exec, s[4:5]
	s_waitcnt vmcnt(0)
	s_setpc_b64 s[30:31]
.Lfunc_end19:
	.size	_Z45ncclDevFunc_AllGather_PAT_SIMPLE_Sum_i8_0_0_4v, .Lfunc_end19-_Z45ncclDevFunc_AllGather_PAT_SIMPLE_Sum_i8_0_0_4v
                                        ; -- End function
	.set .L_Z45ncclDevFunc_AllGather_PAT_SIMPLE_Sum_i8_0_0_4v.num_vgpr, 64
	.set .L_Z45ncclDevFunc_AllGather_PAT_SIMPLE_Sum_i8_0_0_4v.num_agpr, 0
	.set .L_Z45ncclDevFunc_AllGather_PAT_SIMPLE_Sum_i8_0_0_4v.numbered_sgpr, 100
	.set .L_Z45ncclDevFunc_AllGather_PAT_SIMPLE_Sum_i8_0_0_4v.num_named_barrier, 0
	.set .L_Z45ncclDevFunc_AllGather_PAT_SIMPLE_Sum_i8_0_0_4v.private_seg_size, 480
	.set .L_Z45ncclDevFunc_AllGather_PAT_SIMPLE_Sum_i8_0_0_4v.uses_vcc, 1
	.set .L_Z45ncclDevFunc_AllGather_PAT_SIMPLE_Sum_i8_0_0_4v.uses_flat_scratch, 0
	.set .L_Z45ncclDevFunc_AllGather_PAT_SIMPLE_Sum_i8_0_0_4v.has_dyn_sized_stack, 0
	.set .L_Z45ncclDevFunc_AllGather_PAT_SIMPLE_Sum_i8_0_0_4v.has_recursion, 0
	.set .L_Z45ncclDevFunc_AllGather_PAT_SIMPLE_Sum_i8_0_0_4v.has_indirect_call, 0
	.section	.AMDGPU.csdata,"",@progbits
; Function info:
; codeLenInByte = 17296
; TotalNumSgprs: 104
; NumVgprs: 64
; ScratchSize: 480
; MemoryBound: 0
	.section	.AMDGPU.gpr_maximums,"",@progbits
	.set amdgpu.max_num_vgpr, 64
	.set amdgpu.max_num_agpr, 0
	.set amdgpu.max_num_sgpr, 100
	.section	.AMDGPU.csdata,"",@progbits
	.type	__const.__assert_fail.fmt,@object ; @__const.__assert_fail.fmt
	.section	.rodata.str1.16,"aMS",@progbits,1
	.p2align	4, 0x0
__const.__assert_fail.fmt:
	.asciz	"%s:%u: %s: Device-side assertion `%s' failed.\n"
	.size	__const.__assert_fail.fmt, 47

	.type	.str.4,@object                  ; @.str.4
	.section	.rodata.str1.1,"aMS",@progbits,1
.str.4:
	.asciz	"2*(nrecv+nsend) <= nthreads"
	.size	.str.4, 28

	.type	.str.5,@object                  ; @.str.5
.str.5:
	.asciz	"/root/src/amdgpu-assembly/repos/ROCm__rccl/hipify/src/device/prims_simple.h"
	.size	.str.5, 76

	.type	__const.Primitives.roles,@object ; @__const.Primitives.roles
	.section	.rodata,"a",@progbits
	.p2align	4, 0x0
__const.Primitives.roles:
	.long	4                               ; 0x4
	.long	32                              ; 0x20
	.long	8                               ; 0x8
	.long	16                              ; 0x10
	.long	3                               ; 0x3
	.size	__const.Primitives.roles, 20

	.type	__PRETTY_FUNCTION__._ZN10PrimitivesIa7FuncSumIaE12FanSymmetricILi1EELi0E11ProtoSimpleILi2ELi2ELi0ELi1ELi0ELi0EELi0ELb0ELi0ELi0ELi0EEC2EiiPKiS8_PKvPvmhhhP15ncclDevWorkCollP14ncclDevWorkP2pii,@object ; @__PRETTY_FUNCTION__._ZN10PrimitivesIa7FuncSumIaE12FanSymmetricILi1EELi0E11ProtoSimpleILi2ELi2ELi0ELi1ELi0ELi0EELi0ELb0ELi0ELi0ELi0EEC2EiiPKiS8_PKvPvmhhhP15ncclDevWorkCollP14ncclDevWorkP2pii
	.section	.rodata.str1.1,"aMS",@progbits,1
__PRETTY_FUNCTION__._ZN10PrimitivesIa7FuncSumIaE12FanSymmetricILi1EELi0E11ProtoSimpleILi2ELi2ELi0ELi1ELi0ELi0EELi0ELb0ELi0ELi0ELi0EEC2EiiPKiS8_PKvPvmhhhP15ncclDevWorkCollP14ncclDevWorkP2pii:
	.asciz	"Primitives<signed char, FuncSum<signed char>, FanSymmetric<1>, 0, ProtoSimple<2, 2, 0, 1>, 0>::Primitives(int, int, const int *, const int *, const void *, void *, uint64_t, uint8_t, uint8_t, uint8_t, struct ncclDevWorkColl *, struct ncclDevWorkP2p *, int, int) [T = signed char, RedOp = FuncSum<signed char>, Fan = FanSymmetric<1>, Direct = 0, Proto = ProtoSimple<2, 2, 0, 1>, P2p = 0, isNetOffload = false, Metadata = 0, Pipeline = 0, useAcc = 0]"
	.size	__PRETTY_FUNCTION__._ZN10PrimitivesIa7FuncSumIaE12FanSymmetricILi1EELi0E11ProtoSimpleILi2ELi2ELi0ELi1ELi0ELi0EELi0ELb0ELi0ELi0ELi0EEC2EiiPKiS8_PKvPvmhhhP15ncclDevWorkCollP14ncclDevWorkP2pii, 449

	.type	__const.Primitives.roles.7,@object ; @__const.Primitives.roles.7
	.section	.rodata,"a",@progbits
	.p2align	4, 0x0
__const.Primitives.roles.7:
	.long	4                               ; 0x4
	.long	32                              ; 0x20
	.long	8                               ; 0x8
	.long	16                              ; 0x10
	.long	3                               ; 0x3
	.size	__const.Primitives.roles.7, 20

	.type	__PRETTY_FUNCTION__._ZN10PrimitivesIa7FuncSumIaE12FanSymmetricILi1EELi0E11ProtoSimpleILi2ELi2ELi0ELi2ELi0ELi0EELi0ELb0ELi0ELi0ELi0EEC2EiiPKiS8_PKvPvmhhhP15ncclDevWorkCollP14ncclDevWorkP2pii,@object ; @__PRETTY_FUNCTION__._ZN10PrimitivesIa7FuncSumIaE12FanSymmetricILi1EELi0E11ProtoSimpleILi2ELi2ELi0ELi2ELi0ELi0EELi0ELb0ELi0ELi0ELi0EEC2EiiPKiS8_PKvPvmhhhP15ncclDevWorkCollP14ncclDevWorkP2pii
	.section	.rodata.str1.1,"aMS",@progbits,1
__PRETTY_FUNCTION__._ZN10PrimitivesIa7FuncSumIaE12FanSymmetricILi1EELi0E11ProtoSimpleILi2ELi2ELi0ELi2ELi0ELi0EELi0ELb0ELi0ELi0ELi0EEC2EiiPKiS8_PKvPvmhhhP15ncclDevWorkCollP14ncclDevWorkP2pii:
	.asciz	"Primitives<signed char, FuncSum<signed char>, FanSymmetric<1>, 0, ProtoSimple<2, 2, 0, 2>, 0>::Primitives(int, int, const int *, const int *, const void *, void *, uint64_t, uint8_t, uint8_t, uint8_t, struct ncclDevWorkColl *, struct ncclDevWorkP2p *, int, int) [T = signed char, RedOp = FuncSum<signed char>, Fan = FanSymmetric<1>, Direct = 0, Proto = ProtoSimple<2, 2, 0, 2>, P2p = 0, isNetOffload = false, Metadata = 0, Pipeline = 0, useAcc = 0]"
	.size	__PRETTY_FUNCTION__._ZN10PrimitivesIa7FuncSumIaE12FanSymmetricILi1EELi0E11ProtoSimpleILi2ELi2ELi0ELi2ELi0ELi0EELi0ELb0ELi0ELi0ELi0EEC2EiiPKiS8_PKvPvmhhhP15ncclDevWorkCollP14ncclDevWorkP2pii, 449

	.type	__const.Primitives.roles.9,@object ; @__const.Primitives.roles.9
	.section	.rodata,"a",@progbits
	.p2align	4, 0x0
__const.Primitives.roles.9:
	.long	4                               ; 0x4
	.long	32                              ; 0x20
	.long	8                               ; 0x8
	.long	16                              ; 0x10
	.long	3                               ; 0x3
	.size	__const.Primitives.roles.9, 20

	.type	__PRETTY_FUNCTION__._ZN10PrimitivesIa7FuncSumIaE12FanSymmetricILi1EELi0E11ProtoSimpleILi2ELi2ELi0ELi4ELi0ELi0EELi0ELb0ELi0ELi0ELi0EEC2EiiPKiS8_PKvPvmhhhP15ncclDevWorkCollP14ncclDevWorkP2pii,@object ; @__PRETTY_FUNCTION__._ZN10PrimitivesIa7FuncSumIaE12FanSymmetricILi1EELi0E11ProtoSimpleILi2ELi2ELi0ELi4ELi0ELi0EELi0ELb0ELi0ELi0ELi0EEC2EiiPKiS8_PKvPvmhhhP15ncclDevWorkCollP14ncclDevWorkP2pii
	.section	.rodata.str1.1,"aMS",@progbits,1
__PRETTY_FUNCTION__._ZN10PrimitivesIa7FuncSumIaE12FanSymmetricILi1EELi0E11ProtoSimpleILi2ELi2ELi0ELi4ELi0ELi0EELi0ELb0ELi0ELi0ELi0EEC2EiiPKiS8_PKvPvmhhhP15ncclDevWorkCollP14ncclDevWorkP2pii:
	.asciz	"Primitives<signed char, FuncSum<signed char>, FanSymmetric<1>, 0, ProtoSimple<2, 2, 0, 4>, 0>::Primitives(int, int, const int *, const int *, const void *, void *, uint64_t, uint8_t, uint8_t, uint8_t, struct ncclDevWorkColl *, struct ncclDevWorkP2p *, int, int) [T = signed char, RedOp = FuncSum<signed char>, Fan = FanSymmetric<1>, Direct = 0, Proto = ProtoSimple<2, 2, 0, 4>, P2p = 0, isNetOffload = false, Metadata = 0, Pipeline = 0, useAcc = 0]"
	.size	__PRETTY_FUNCTION__._ZN10PrimitivesIa7FuncSumIaE12FanSymmetricILi1EELi0E11ProtoSimpleILi2ELi2ELi0ELi4ELi0ELi0EELi0ELb0ELi0ELi0ELi0EEC2EiiPKiS8_PKvPvmhhhP15ncclDevWorkCollP14ncclDevWorkP2pii, 449

	.type	__hip_cuid_4562df400936f0e8,@object ; @__hip_cuid_4562df400936f0e8
	.section	.bss,"aw",@nobits
	.globl	__hip_cuid_4562df400936f0e8
__hip_cuid_4562df400936f0e8:
	.byte	0                               ; 0x0
	.size	__hip_cuid_4562df400936f0e8, 1

	.ident	"AMD clang version 22.0.0git (https://github.com/RadeonOpenCompute/llvm-project roc-7.2.4 26084 f58b06dce1f9c15707c5f808fd002e18c2accf7e)"
	.section	".note.GNU-stack","",@progbits
	.addrsig
	.addrsig_sym _Z42ncclDevFunc_AllGather_RING_LL_Sum_i8_0_0_1v
	.addrsig_sym _Z46ncclDevFunc_AllGather_RING_SIMPLE_Sum_i8_0_0_1v
	.addrsig_sym _Z41ncclDevFunc_AllGather_PAT_LL_Sum_i8_0_0_1v
	.addrsig_sym _Z45ncclDevFunc_AllGather_PAT_SIMPLE_Sum_i8_0_0_1v
	.addrsig_sym _Z42ncclDevFunc_AllGather_RING_LL_Sum_i8_0_0_2v
	.addrsig_sym _Z46ncclDevFunc_AllGather_RING_SIMPLE_Sum_i8_0_0_2v
	.addrsig_sym _Z41ncclDevFunc_AllGather_PAT_LL_Sum_i8_0_0_2v
	.addrsig_sym _Z45ncclDevFunc_AllGather_PAT_SIMPLE_Sum_i8_0_0_2v
	.addrsig_sym _Z42ncclDevFunc_AllGather_RING_LL_Sum_i8_0_0_4v
	.addrsig_sym _Z46ncclDevFunc_AllGather_RING_SIMPLE_Sum_i8_0_0_4v
	.addrsig_sym _Z41ncclDevFunc_AllGather_PAT_LL_Sum_i8_0_0_4v
	.addrsig_sym _Z45ncclDevFunc_AllGather_PAT_SIMPLE_Sum_i8_0_0_4v
	.addrsig_sym ncclShmem
	.addrsig_sym ncclShmemPerWarp
	.addrsig_sym __hip_cuid_4562df400936f0e8
	.amdgpu_metadata
---
amdhsa.kernels:  []
amdhsa.target:   amdgcn-amd-amdhsa--gfx906
amdhsa.version:
  - 1
  - 2
...

	.end_amdgpu_metadata
